;; amdgpu-corpus repo=ROCm/rocFFT kind=compiled arch=gfx906 opt=O3
	.text
	.amdgcn_target "amdgcn-amd-amdhsa--gfx906"
	.amdhsa_code_object_version 6
	.protected	bluestein_single_fwd_len1620_dim1_half_op_CI_CI ; -- Begin function bluestein_single_fwd_len1620_dim1_half_op_CI_CI
	.globl	bluestein_single_fwd_len1620_dim1_half_op_CI_CI
	.p2align	8
	.type	bluestein_single_fwd_len1620_dim1_half_op_CI_CI,@function
bluestein_single_fwd_len1620_dim1_half_op_CI_CI: ; @bluestein_single_fwd_len1620_dim1_half_op_CI_CI
; %bb.0:
	s_load_dwordx4 s[0:3], s[4:5], 0x28
	v_mul_u32_u24_e32 v1, 0x195, v0
	v_add_u32_sdwa v8, s6, v1 dst_sel:DWORD dst_unused:UNUSED_PAD src0_sel:DWORD src1_sel:WORD_1
	v_mov_b32_e32 v9, 0
	s_waitcnt lgkmcnt(0)
	v_cmp_gt_u64_e32 vcc, s[0:1], v[8:9]
	s_and_saveexec_b64 s[0:1], vcc
	s_cbranch_execz .LBB0_34
; %bb.1:
	s_load_dwordx4 s[8:11], s[4:5], 0x18
	s_load_dwordx4 s[12:15], s[4:5], 0x0
	s_movk_i32 s0, 0xa2
	v_mul_lo_u16_sdwa v1, v1, s0 dst_sel:DWORD dst_unused:UNUSED_PAD src0_sel:WORD_1 src1_sel:DWORD
	v_sub_u16_e32 v51, v0, v1
	s_waitcnt lgkmcnt(0)
	s_load_dwordx4 s[16:19], s[8:9], 0x0
	v_lshlrev_b32_e32 v42, 2, v51
	global_load_dword v52, v42, s[12:13]
	s_movk_i32 s6, 0x1000
	s_mov_b32 s7, 0xbb9c
	s_waitcnt lgkmcnt(0)
	v_mad_u64_u32 v[0:1], s[0:1], s18, v8, 0
	v_mad_u64_u32 v[2:3], s[0:1], s16, v51, 0
	v_mad_u64_u32 v[4:5], s[0:1], s19, v8, v[1:2]
	v_mad_u64_u32 v[5:6], s[0:1], s17, v51, v[3:4]
	v_mov_b32_e32 v1, v4
	v_lshlrev_b64 v[0:1], 2, v[0:1]
	v_mov_b32_e32 v6, s3
	v_mov_b32_e32 v3, v5
	v_add_co_u32_e32 v4, vcc, s2, v0
	v_addc_co_u32_e32 v5, vcc, v6, v1, vcc
	v_lshlrev_b64 v[0:1], 2, v[2:3]
	v_mov_b32_e32 v2, s13
	v_add_co_u32_e32 v0, vcc, v4, v0
	v_addc_co_u32_e32 v1, vcc, v5, v1, vcc
	v_add_co_u32_e64 v53, s[2:3], s12, v42
	s_mul_i32 s0, s17, 0x288
	s_mul_hi_u32 s1, s16, 0x288
	global_load_dword v6, v[0:1], off
	v_addc_co_u32_e64 v4, vcc, 0, v2, s[2:3]
	s_add_i32 s0, s1, s0
	s_mul_i32 s1, s16, 0x288
	v_mov_b32_e32 v3, s0
	v_add_co_u32_e32 v2, vcc, s1, v0
	v_addc_co_u32_e32 v3, vcc, v1, v3, vcc
	v_mov_b32_e32 v5, s0
	v_add_co_u32_e32 v0, vcc, s1, v2
	v_addc_co_u32_e32 v1, vcc, v3, v5, vcc
	global_load_dword v5, v[2:3], off
	global_load_dword v7, v[0:1], off
	global_load_dword v50, v42, s[12:13] offset:648
	global_load_dword v49, v42, s[12:13] offset:1296
	v_mov_b32_e32 v2, s0
	v_add_co_u32_e32 v0, vcc, s1, v0
	v_addc_co_u32_e32 v1, vcc, v1, v2, vcc
	v_mov_b32_e32 v3, s0
	v_add_co_u32_e32 v2, vcc, s1, v0
	v_addc_co_u32_e32 v3, vcc, v1, v3, vcc
	global_load_dword v9, v[0:1], off
	global_load_dword v48, v42, s[12:13] offset:1944
	global_load_dword v10, v[2:3], off
	global_load_dword v47, v42, s[12:13] offset:2592
	v_mov_b32_e32 v1, s0
	v_add_co_u32_e32 v0, vcc, s1, v2
	v_addc_co_u32_e32 v1, vcc, v3, v1, vcc
	global_load_dword v11, v[0:1], off
	v_mov_b32_e32 v2, s0
	v_add_co_u32_e32 v0, vcc, s1, v0
	v_addc_co_u32_e32 v1, vcc, v1, v2, vcc
	global_load_dword v46, v42, s[12:13] offset:3240
	global_load_dword v12, v[0:1], off
	global_load_dword v45, v42, s[12:13] offset:3888
	v_add_co_u32_e32 v0, vcc, s1, v0
	v_addc_co_u32_e32 v1, vcc, v1, v2, vcc
	v_add_co_u32_e32 v2, vcc, s6, v53
	global_load_dword v13, v[0:1], off
	v_addc_co_u32_e32 v3, vcc, 0, v4, vcc
	global_load_dword v44, v[2:3], off offset:440
	v_mov_b32_e32 v4, s0
	v_add_co_u32_e32 v0, vcc, s1, v0
	v_addc_co_u32_e32 v1, vcc, v1, v4, vcc
	global_load_dword v14, v[0:1], off
	global_load_dword v43, v[2:3], off offset:1088
	v_add_co_u32_e32 v0, vcc, s1, v0
	v_addc_co_u32_e32 v1, vcc, v1, v4, vcc
	global_load_dword v4, v[0:1], off
	global_load_dword v41, v[2:3], off offset:1736
	s_load_dwordx4 s[8:11], s[10:11], 0x0
	s_movk_i32 s0, 0x3b9c
	s_movk_i32 s1, 0x38b4
	s_mov_b32 s12, 0xb8b4
	s_movk_i32 s6, 0x34f2
	s_movk_i32 s16, 0x3a79
	s_waitcnt vmcnt(18)
	v_lshrrev_b32_e32 v0, 16, v6
	v_mul_f16_sdwa v1, v52, v0 dst_sel:DWORD dst_unused:UNUSED_PAD src0_sel:WORD_1 src1_sel:DWORD
	v_mul_f16_sdwa v2, v52, v6 dst_sel:DWORD dst_unused:UNUSED_PAD src0_sel:WORD_1 src1_sel:DWORD
	v_fma_f16 v1, v52, v6, v1
	v_fma_f16 v0, v52, v0, -v2
	v_pack_b32_f16 v0, v1, v0
	v_add_u32_e32 v6, 0x400, v42
	s_waitcnt vmcnt(17)
	v_lshrrev_b32_e32 v1, 16, v5
	s_waitcnt vmcnt(15)
	v_mul_f16_sdwa v2, v50, v1 dst_sel:DWORD dst_unused:UNUSED_PAD src0_sel:WORD_1 src1_sel:DWORD
	v_mul_f16_sdwa v3, v50, v5 dst_sel:DWORD dst_unused:UNUSED_PAD src0_sel:WORD_1 src1_sel:DWORD
	v_fma_f16 v2, v50, v5, v2
	v_fma_f16 v1, v50, v1, -v3
	v_pack_b32_f16 v1, v2, v1
	ds_write2_b32 v42, v0, v1 offset1:162
	v_lshrrev_b32_e32 v0, 16, v7
	s_waitcnt vmcnt(14)
	v_mul_f16_sdwa v1, v49, v0 dst_sel:DWORD dst_unused:UNUSED_PAD src0_sel:WORD_1 src1_sel:DWORD
	v_mul_f16_sdwa v2, v49, v7 dst_sel:DWORD dst_unused:UNUSED_PAD src0_sel:WORD_1 src1_sel:DWORD
	v_fma_f16 v1, v49, v7, v1
	v_fma_f16 v0, v49, v0, -v2
	v_pack_b32_f16 v0, v1, v0
	s_waitcnt vmcnt(13)
	v_lshrrev_b32_e32 v1, 16, v9
	s_waitcnt vmcnt(12)
	v_mul_f16_sdwa v2, v48, v1 dst_sel:DWORD dst_unused:UNUSED_PAD src0_sel:WORD_1 src1_sel:DWORD
	v_mul_f16_sdwa v3, v48, v9 dst_sel:DWORD dst_unused:UNUSED_PAD src0_sel:WORD_1 src1_sel:DWORD
	v_fma_f16 v2, v48, v9, v2
	v_fma_f16 v1, v48, v1, -v3
	v_pack_b32_f16 v1, v2, v1
	ds_write2_b32 v6, v0, v1 offset0:68 offset1:230
	s_waitcnt vmcnt(11)
	v_lshrrev_b32_e32 v0, 16, v10
	s_waitcnt vmcnt(10)
	v_mul_f16_sdwa v1, v47, v0 dst_sel:DWORD dst_unused:UNUSED_PAD src0_sel:WORD_1 src1_sel:DWORD
	v_mul_f16_sdwa v2, v47, v10 dst_sel:DWORD dst_unused:UNUSED_PAD src0_sel:WORD_1 src1_sel:DWORD
	v_fma_f16 v1, v47, v10, v1
	v_fma_f16 v0, v47, v0, -v2
	v_pack_b32_f16 v0, v1, v0
	s_waitcnt vmcnt(9)
	v_lshrrev_b32_e32 v1, 16, v11
	s_waitcnt vmcnt(8)
	v_mul_f16_sdwa v2, v46, v1 dst_sel:DWORD dst_unused:UNUSED_PAD src0_sel:WORD_1 src1_sel:DWORD
	v_mul_f16_sdwa v3, v46, v11 dst_sel:DWORD dst_unused:UNUSED_PAD src0_sel:WORD_1 src1_sel:DWORD
	v_fma_f16 v2, v46, v11, v2
	v_fma_f16 v1, v46, v1, -v3
	v_pack_b32_f16 v1, v2, v1
	v_add_u32_e32 v11, 0xa00, v42
	ds_write2_b32 v11, v0, v1 offset0:8 offset1:170
	s_waitcnt vmcnt(7)
	v_lshrrev_b32_e32 v0, 16, v12
	s_waitcnt vmcnt(6)
	v_mul_f16_sdwa v1, v45, v0 dst_sel:DWORD dst_unused:UNUSED_PAD src0_sel:WORD_1 src1_sel:DWORD
	v_mul_f16_sdwa v2, v45, v12 dst_sel:DWORD dst_unused:UNUSED_PAD src0_sel:WORD_1 src1_sel:DWORD
	v_fma_f16 v1, v45, v12, v1
	v_fma_f16 v0, v45, v0, -v2
	v_pack_b32_f16 v0, v1, v0
	s_waitcnt vmcnt(5)
	v_lshrrev_b32_e32 v1, 16, v13
	s_waitcnt vmcnt(4)
	v_mul_f16_sdwa v2, v44, v1 dst_sel:DWORD dst_unused:UNUSED_PAD src0_sel:WORD_1 src1_sel:DWORD
	v_mul_f16_sdwa v3, v44, v13 dst_sel:DWORD dst_unused:UNUSED_PAD src0_sel:WORD_1 src1_sel:DWORD
	v_fma_f16 v2, v44, v13, v2
	v_fma_f16 v1, v44, v1, -v3
	v_pack_b32_f16 v1, v2, v1
	v_add_u32_e32 v5, 0xe00, v42
	ds_write2_b32 v5, v0, v1 offset0:76 offset1:238
	s_waitcnt vmcnt(3)
	v_lshrrev_b32_e32 v0, 16, v14
	s_waitcnt vmcnt(2)
	v_mul_f16_sdwa v1, v43, v0 dst_sel:DWORD dst_unused:UNUSED_PAD src0_sel:WORD_1 src1_sel:DWORD
	v_mul_f16_sdwa v2, v43, v14 dst_sel:DWORD dst_unused:UNUSED_PAD src0_sel:WORD_1 src1_sel:DWORD
	v_fma_f16 v1, v43, v14, v1
	v_fma_f16 v0, v43, v0, -v2
	v_pack_b32_f16 v0, v1, v0
	s_waitcnt vmcnt(1)
	v_lshrrev_b32_e32 v1, 16, v4
	s_waitcnt vmcnt(0)
	v_mul_f16_sdwa v2, v41, v1 dst_sel:DWORD dst_unused:UNUSED_PAD src0_sel:WORD_1 src1_sel:DWORD
	v_mul_f16_sdwa v3, v41, v4 dst_sel:DWORD dst_unused:UNUSED_PAD src0_sel:WORD_1 src1_sel:DWORD
	v_fma_f16 v2, v41, v4, v2
	v_fma_f16 v1, v41, v1, -v3
	v_pack_b32_f16 v1, v2, v1
	v_add_u32_e32 v9, 0x1400, v42
	ds_write2_b32 v9, v0, v1 offset0:16 offset1:178
	s_waitcnt lgkmcnt(0)
	s_barrier
	ds_read2_b32 v[0:1], v42 offset1:162
	ds_read2_b32 v[2:3], v11 offset0:8 offset1:170
	ds_read2_b32 v[4:5], v5 offset0:76 offset1:238
	;; [unrolled: 1-line block ×3, first 2 shown]
	s_waitcnt lgkmcnt(1)
	v_add_f16_e32 v12, v2, v4
	s_waitcnt lgkmcnt(0)
	v_pk_add_f16 v10, v0, v6
	v_pk_add_f16 v13, v10, v2
	;; [unrolled: 1-line block ×4, first 2 shown]
	ds_read2_b32 v[9:10], v9 offset0:16 offset1:178
	v_pk_add_f16 v14, v14, v5
	v_sub_f16_sdwa v15, v2, v4 dst_sel:DWORD dst_unused:UNUSED_PAD src0_sel:WORD_1 src1_sel:WORD_1
	v_sub_f16_e32 v16, v6, v2
	v_sub_f16_e32 v17, v2, v6
	s_waitcnt lgkmcnt(0)
	v_add_f16_e32 v29, v6, v9
	v_add_f16_sdwa v18, v2, v4 dst_sel:DWORD dst_unused:UNUSED_PAD src0_sel:WORD_1 src1_sel:WORD_1
	v_sub_f16_e32 v19, v2, v4
	v_sub_f16_sdwa v20, v6, v2 dst_sel:DWORD dst_unused:UNUSED_PAD src0_sel:WORD_1 src1_sel:WORD_1
	v_sub_f16_sdwa v2, v2, v6 dst_sel:DWORD dst_unused:UNUSED_PAD src0_sel:WORD_1 src1_sel:WORD_1
	v_add_f16_e32 v21, v3, v5
	v_sub_f16_sdwa v22, v3, v5 dst_sel:DWORD dst_unused:UNUSED_PAD src0_sel:WORD_1 src1_sel:WORD_1
	v_sub_f16_e32 v23, v7, v3
	v_sub_f16_e32 v24, v3, v7
	v_add_f16_sdwa v25, v3, v5 dst_sel:DWORD dst_unused:UNUSED_PAD src0_sel:WORD_1 src1_sel:WORD_1
	v_sub_f16_e32 v26, v3, v5
	v_sub_f16_sdwa v27, v7, v3 dst_sel:DWORD dst_unused:UNUSED_PAD src0_sel:WORD_1 src1_sel:WORD_1
	v_sub_f16_sdwa v3, v3, v7 dst_sel:DWORD dst_unused:UNUSED_PAD src0_sel:WORD_1 src1_sel:WORD_1
	;; [unrolled: 1-line block ×3, first 2 shown]
	v_add_f16_e32 v32, v7, v10
	v_sub_f16_e32 v33, v7, v10
	v_add_f16_sdwa v7, v7, v10 dst_sel:DWORD dst_unused:UNUSED_PAD src0_sel:WORD_1 src1_sel:WORD_1
	v_pk_add_f16 v13, v13, v4
	v_sub_f16_e32 v34, v9, v4
	v_sub_f16_e32 v35, v4, v9
	v_sub_f16_sdwa v36, v9, v4 dst_sel:DWORD dst_unused:UNUSED_PAD src0_sel:WORD_1 src1_sel:WORD_1
	v_sub_f16_sdwa v4, v4, v9 dst_sel:DWORD dst_unused:UNUSED_PAD src0_sel:WORD_1 src1_sel:WORD_1
	v_sub_f16_e32 v37, v10, v5
	v_sub_f16_e32 v38, v5, v10
	v_sub_f16_sdwa v39, v10, v5 dst_sel:DWORD dst_unused:UNUSED_PAD src0_sel:WORD_1 src1_sel:WORD_1
	v_sub_f16_sdwa v5, v5, v10 dst_sel:DWORD dst_unused:UNUSED_PAD src0_sel:WORD_1 src1_sel:WORD_1
	v_pk_add_f16 v10, v14, v10
	v_fma_f16 v14, v29, -0.5, v0
	v_sub_f16_sdwa v28, v6, v9 dst_sel:DWORD dst_unused:UNUSED_PAD src0_sel:WORD_1 src1_sel:WORD_1
	v_sub_f16_e32 v30, v6, v9
	v_add_f16_sdwa v6, v6, v9 dst_sel:DWORD dst_unused:UNUSED_PAD src0_sel:WORD_1 src1_sel:WORD_1
	v_pk_add_f16 v9, v13, v9
	v_add_f16_e32 v13, v17, v35
	v_fma_f16 v17, v15, s7, v14
	v_fma_f16 v14, v15, s0, v14
	v_add_f16_e32 v2, v2, v4
	v_lshrrev_b32_e32 v4, 16, v0
	v_fma_f16 v17, v28, s1, v17
	v_fma_f16 v14, v28, s12, v14
	v_fma_f16 v6, v6, -0.5, v4
	v_fma_f16 v17, v13, s6, v17
	v_fma_f16 v13, v13, s6, v14
	;; [unrolled: 1-line block ×8, first 2 shown]
	v_add_f16_e32 v2, v24, v38
	v_fma_f16 v24, v32, -0.5, v1
	v_fma_f16 v29, v22, s7, v24
	v_fma_f16 v24, v22, s0, v24
	;; [unrolled: 1-line block ×6, first 2 shown]
	v_lshrrev_b32_e32 v24, 16, v1
	v_fma_f16 v21, v21, -0.5, v1
	v_fma_f16 v1, v7, -0.5, v24
	;; [unrolled: 1-line block ×3, first 2 shown]
	v_add_f16_e32 v0, v3, v5
	v_fma_f16 v3, v26, s0, v1
	v_fma_f16 v3, v33, s12, v3
	;; [unrolled: 1-line block ×6, first 2 shown]
	v_mul_f16_e32 v1, 0x3b9c, v3
	v_fma_f16 v5, v29, s6, v1
	v_mul_f16_e32 v1, 0xbb9c, v29
	v_fma_f16 v7, v3, s6, v1
	v_mul_f16_e32 v1, 0x34f2, v2
	v_fma_f16 v29, v0, s0, -v1
	v_mul_f16_e32 v0, 0x34f2, v0
	v_fma_f16 v32, v2, s7, -v0
	v_add_f16_e32 v0, v13, v29
	v_add_f16_e32 v1, v6, v32
	v_pack_b32_f16 v1, v0, v1
	v_add_f16_e32 v0, v17, v5
	v_add_f16_e32 v2, v14, v7
	v_pack_b32_f16 v0, v0, v2
	v_fma_f16 v4, v18, -0.5, v4
	v_add_f16_e32 v18, v20, v36
	v_add_f16_e32 v20, v23, v37
	v_fma_f16 v23, v25, -0.5, v24
	v_fma_f16 v2, v31, s0, v21
	v_fma_f16 v2, v22, s1, v2
	v_fma_f16 v3, v33, s7, v23
	v_add_f16_e32 v24, v27, v39
	v_fma_f16 v2, v20, s6, v2
	v_fma_f16 v3, v26, s12, v3
	;; [unrolled: 1-line block ×3, first 2 shown]
	v_mul_f16_e32 v25, 0x3a79, v2
	v_mul_f16_e32 v2, 0xb8b4, v2
	v_fma_f16 v27, v3, s16, v2
	v_mul_lo_u16_e32 v2, 10, v51
	v_lshlrev_b32_e32 v54, 2, v2
	v_fma_f16 v2, v28, s0, v12
	v_add_f16_e32 v16, v16, v34
	v_fma_f16 v2, v15, s1, v2
	v_fma_f16 v34, v16, s6, v2
	;; [unrolled: 1-line block ×6, first 2 shown]
	v_add_f16_e32 v2, v34, v25
	v_add_f16_e32 v3, v35, v27
	v_pack_b32_f16 v3, v2, v3
	v_pk_add_f16 v2, v9, v10
	s_barrier
	ds_write2_b64 v54, v[2:3], v[0:1] offset1:1
	v_sub_f16_e32 v1, v17, v5
	v_sub_f16_e32 v3, v14, v7
	v_pack_b32_f16 v1, v1, v3
	v_fma_f16 v3, v30, s0, v4
	v_fma_f16 v4, v31, s7, v21
	;; [unrolled: 1-line block ×4, first 2 shown]
	v_sub_f16_e32 v0, v34, v25
	v_sub_f16_e32 v2, v35, v27
	v_fma_f16 v4, v20, s6, v4
	v_fma_f16 v5, v26, s1, v5
	v_pack_b32_f16 v0, v0, v2
	v_fma_f16 v2, v28, s7, v12
	v_fma_f16 v5, v24, s6, v5
	v_mul_f16_e32 v7, 0x3a79, v4
	v_fma_f16 v2, v15, s12, v2
	v_fma_f16 v3, v19, s1, v3
	v_fma_f16 v7, v5, s1, -v7
	v_mul_f16_e32 v5, 0x3a79, v5
	v_fma_f16 v2, v16, s6, v2
	v_fma_f16 v3, v18, s6, v3
	v_fma_f16 v4, v4, s12, -v5
	v_add_f16_e32 v12, v2, v7
	v_sub_f16_e32 v17, v2, v7
	v_add_f16_e32 v2, v3, v4
	v_sub_f16_e32 v5, v13, v29
	v_sub_f16_e32 v6, v6, v32
	;; [unrolled: 1-line block ×3, first 2 shown]
	v_pk_add_f16 v3, v9, v10 neg_lo:[0,1] neg_hi:[0,1]
	v_pack_b32_f16 v2, v12, v2
	ds_write2_b64 v54, v[2:3], v[0:1] offset0:2 offset1:3
	v_pack_b32_f16 v1, v17, v18
	v_pack_b32_f16 v0, v5, v6
	ds_write_b64 v54, v[0:1] offset:32
	v_add_u32_e32 v0, 0x500, v42
	v_add_u32_e32 v2, 0x1000, v42
	s_waitcnt lgkmcnt(0)
	s_barrier
	ds_read2_b32 v[0:1], v0 offset0:4 offset1:220
	ds_read2_b32 v[6:7], v2 offset0:56 offset1:218
	;; [unrolled: 1-line block ×3, first 2 shown]
	ds_read_b32 v19, v42 offset:5616
	ds_read2_b32 v[2:3], v42 offset1:162
	s_load_dwordx2 s[16:17], s[4:5], 0x38
	v_cmp_gt_u16_e64 s[0:1], 54, v51
                                        ; implicit-def: $vgpr20
                                        ; implicit-def: $vgpr22
                                        ; implicit-def: $vgpr21
                                        ; implicit-def: $vgpr23
	s_and_saveexec_b64 s[4:5], s[0:1]
	s_cbranch_execz .LBB0_3
; %bb.2:
	ds_read_b32 v17, v42 offset:1944
	ds_read_b32 v20, v42 offset:4104
	;; [unrolled: 1-line block ×3, first 2 shown]
	s_waitcnt lgkmcnt(0)
	v_lshrrev_b32_e32 v18, 16, v17
	v_lshrrev_b32_e32 v22, 16, v20
	;; [unrolled: 1-line block ×3, first 2 shown]
.LBB0_3:
	s_or_b64 exec, exec, s[4:5]
	v_add_co_u32_e32 v25, vcc, 0xa2, v51
	s_mov_b64 s[4:5], vcc
	s_movk_i32 s6, 0xcd
	s_mov_b32 s12, 0xcccd
	v_add_co_u32_e32 v31, vcc, 0x144, v51
	v_mul_lo_u16_sdwa v9, v51, s6 dst_sel:DWORD dst_unused:UNUSED_PAD src0_sel:BYTE_0 src1_sel:DWORD
	v_mul_u32_u24_sdwa v13, v31, s12 dst_sel:DWORD dst_unused:UNUSED_PAD src0_sel:WORD_0 src1_sel:DWORD
	v_lshrrev_b16_e32 v24, 11, v9
	s_mov_b64 s[6:7], vcc
	v_lshrrev_b32_e32 v38, 19, v13
	v_add_co_u32_e32 v69, vcc, 0x1e6, v51
	v_mul_lo_u16_e32 v9, 10, v24
	v_mul_u32_u24_sdwa v10, v25, s12 dst_sel:DWORD dst_unused:UNUSED_PAD src0_sel:WORD_0 src1_sel:DWORD
	v_mul_lo_u16_e32 v13, 10, v38
	v_mul_u32_u24_sdwa v15, v69, s12 dst_sel:DWORD dst_unused:UNUSED_PAD src0_sel:WORD_0 src1_sel:DWORD
	v_sub_u16_e32 v9, v51, v9
	v_lshrrev_b32_e32 v36, 19, v10
	v_sub_u16_e32 v39, v31, v13
	v_lshrrev_b32_e32 v40, 19, v15
	v_and_b32_e32 v35, 0xff, v9
	v_mul_lo_u16_e32 v10, 10, v36
	v_lshlrev_b16_e32 v13, 1, v39
	v_mul_lo_u16_e32 v15, 10, v40
	v_lshlrev_b32_e32 v9, 3, v35
	v_sub_u16_e32 v37, v25, v10
	v_lshlrev_b32_e32 v13, 2, v13
	v_sub_u16_e32 v55, v69, v15
	global_load_dwordx2 v[11:12], v9, s[14:15]
	v_lshlrev_b16_e32 v15, 1, v55
	global_load_dwordx2 v[13:14], v13, s[14:15]
	v_lshlrev_b16_e32 v9, 1, v37
	v_lshlrev_b32_e32 v9, 2, v9
	v_lshlrev_b32_e32 v15, 2, v15
	global_load_dwordx2 v[9:10], v9, s[14:15]
	s_waitcnt lgkmcnt(0)
	v_lshrrev_b32_e32 v29, 16, v6
	global_load_dwordx2 v[15:16], v15, s[14:15]
	v_lshrrev_b32_e32 v58, 16, v19
	v_lshrrev_b32_e32 v28, 16, v1
	;; [unrolled: 1-line block ×6, first 2 shown]
	v_addc_co_u32_e64 v26, s[4:5], 0, 0, s[4:5]
	v_addc_co_u32_e64 v32, s[4:5], 0, 0, s[6:7]
	v_addc_co_u32_e64 v70, s[4:5], 0, 0, vcc
	s_movk_i32 s4, 0x3aee
	s_mov_b32 s5, 0xbaee
	v_lshrrev_b32_e32 v30, 16, v3
	v_lshrrev_b32_e32 v56, 16, v0
	s_waitcnt vmcnt(0)
	s_barrier
	v_mul_f16_sdwa v61, v29, v12 dst_sel:DWORD dst_unused:UNUSED_PAD src0_sel:DWORD src1_sel:WORD_1
	v_mul_f16_sdwa v60, v1, v11 dst_sel:DWORD dst_unused:UNUSED_PAD src0_sel:DWORD src1_sel:WORD_1
	;; [unrolled: 1-line block ×3, first 2 shown]
	v_fma_f16 v6, v6, v12, -v61
	v_mul_f16_sdwa v61, v58, v14 dst_sel:DWORD dst_unused:UNUSED_PAD src0_sel:DWORD src1_sel:WORD_1
	v_mul_f16_sdwa v59, v28, v11 dst_sel:DWORD dst_unused:UNUSED_PAD src0_sel:DWORD src1_sel:WORD_1
	;; [unrolled: 1-line block ×3, first 2 shown]
	v_fma_f16 v28, v28, v11, v60
	v_fma_f16 v29, v29, v12, v62
	v_mul_f16_sdwa v62, v19, v14 dst_sel:DWORD dst_unused:UNUSED_PAD src0_sel:DWORD src1_sel:WORD_1
	v_fma_f16 v19, v19, v14, -v61
	v_mul_f16_sdwa v61, v23, v16 dst_sel:DWORD dst_unused:UNUSED_PAD src0_sel:DWORD src1_sel:WORD_1
	v_mul_f16_sdwa v63, v33, v9 dst_sel:DWORD dst_unused:UNUSED_PAD src0_sel:DWORD src1_sel:WORD_1
	;; [unrolled: 1-line block ×4, first 2 shown]
	v_fma_f16 v1, v1, v11, -v59
	v_fma_f16 v7, v7, v10, -v65
	v_mul_f16_sdwa v59, v57, v13 dst_sel:DWORD dst_unused:UNUSED_PAD src0_sel:DWORD src1_sel:WORD_1
	v_fma_f16 v58, v58, v14, v62
	v_mul_f16_sdwa v62, v21, v16 dst_sel:DWORD dst_unused:UNUSED_PAD src0_sel:DWORD src1_sel:WORD_1
	v_sub_f16_e32 v65, v28, v29
	v_fma_f16 v21, v21, v16, -v61
	v_add_f16_e32 v61, v27, v28
	v_add_f16_e32 v28, v28, v29
	v_fma_f16 v4, v4, v9, -v63
	v_fma_f16 v33, v33, v9, v64
	v_mul_f16_sdwa v60, v5, v13 dst_sel:DWORD dst_unused:UNUSED_PAD src0_sel:DWORD src1_sel:WORD_1
	v_fma_f16 v5, v5, v13, -v59
	v_mul_f16_sdwa v59, v22, v15 dst_sel:DWORD dst_unused:UNUSED_PAD src0_sel:DWORD src1_sel:WORD_1
	v_add_f16_e32 v63, v2, v1
	v_add_f16_e32 v64, v1, v6
	v_fma_f16 v27, v28, -0.5, v27
	v_sub_f16_e32 v1, v1, v6
	v_fma_f16 v57, v57, v13, v60
	v_mul_f16_sdwa v60, v20, v15 dst_sel:DWORD dst_unused:UNUSED_PAD src0_sel:DWORD src1_sel:WORD_1
	v_fma_f16 v20, v20, v15, -v59
	v_add_f16_e32 v59, v63, v6
	v_fma_f16 v6, v1, s5, v27
	v_fma_f16 v1, v1, s4, v27
	v_add_f16_e32 v27, v3, v4
	v_fma_f16 v34, v34, v10, v66
	v_fma_f16 v23, v23, v16, v62
	v_add_f16_e32 v62, v27, v7
	v_add_f16_e32 v27, v4, v7
	v_fma_f16 v3, v27, -0.5, v3
	v_sub_f16_e32 v27, v33, v34
	v_fma_f16 v63, v27, s4, v3
	v_fma_f16 v3, v27, s5, v3
	v_add_f16_e32 v27, v30, v33
	v_fma_f16 v2, v64, -0.5, v2
	v_add_f16_e32 v64, v27, v34
	v_add_f16_e32 v27, v33, v34
	v_fma_f16 v27, v27, -0.5, v30
	v_sub_f16_e32 v4, v4, v7
	v_fma_f16 v7, v4, s5, v27
	v_fma_f16 v4, v4, s4, v27
	v_add_f16_e32 v27, v0, v5
	v_fma_f16 v22, v22, v15, v60
	v_fma_f16 v60, v65, s4, v2
	;; [unrolled: 1-line block ×3, first 2 shown]
	v_add_f16_e32 v65, v27, v19
	v_add_f16_e32 v27, v5, v19
	v_fma_f16 v0, v27, -0.5, v0
	v_sub_f16_e32 v27, v57, v58
	v_fma_f16 v66, v27, s4, v0
	v_fma_f16 v0, v27, s5, v0
	v_add_f16_e32 v27, v56, v57
	v_add_f16_e32 v67, v27, v58
	v_add_f16_e32 v27, v57, v58
	v_fma_f16 v27, v27, -0.5, v56
	v_sub_f16_e32 v5, v5, v19
	v_fma_f16 v19, v5, s5, v27
	v_fma_f16 v5, v5, s4, v27
	v_add_f16_e32 v27, v17, v20
	v_add_f16_e32 v28, v27, v21
	;; [unrolled: 1-line block ×4, first 2 shown]
	v_fma_f16 v17, v27, -0.5, v17
	v_sub_f16_e32 v29, v22, v23
	v_fma_f16 v27, v29, s4, v17
	v_fma_f16 v29, v29, s5, v17
	v_add_f16_e32 v17, v18, v22
	v_add_f16_e32 v30, v17, v23
	;; [unrolled: 1-line block ×3, first 2 shown]
	v_fma_f16 v17, v17, -0.5, v18
	v_sub_f16_e32 v18, v20, v21
	v_fma_f16 v34, v18, s5, v17
	v_fma_f16 v33, v18, s4, v17
	v_mul_u32_u24_e32 v17, 30, v24
	v_add_lshl_u32 v57, v17, v35, 2
	v_pack_b32_f16 v1, v2, v1
	ds_write_b32 v57, v1 offset:80
	v_mad_legacy_u16 v1, v36, 30, v37
	v_pack_b32_f16 v17, v59, v61
	v_pack_b32_f16 v6, v60, v6
	v_lshlrev_b32_e32 v58, 2, v1
	v_pack_b32_f16 v1, v62, v64
	v_pack_b32_f16 v2, v63, v7
	ds_write2_b32 v57, v17, v6 offset1:10
	ds_write2_b32 v58, v1, v2 offset1:10
	v_pack_b32_f16 v1, v3, v4
	ds_write_b32 v58, v1 offset:80
	v_mad_legacy_u16 v1, v38, 30, v39
	v_lshlrev_b32_e32 v60, 2, v1
	v_pack_b32_f16 v1, v65, v67
	v_pack_b32_f16 v2, v66, v19
	;; [unrolled: 1-line block ×3, first 2 shown]
	v_mad_legacy_u16 v59, v40, 30, v55
	ds_write2_b32 v60, v1, v2 offset1:10
	ds_write_b32 v60, v0 offset:80
	s_and_saveexec_b64 s[4:5], s[0:1]
	s_cbranch_execz .LBB0_5
; %bb.4:
	s_mov_b32 s6, 0x5040100
	v_lshlrev_b32_e32 v0, 2, v59
	v_perm_b32 v1, v30, v28, s6
	v_perm_b32 v2, v34, v27, s6
	ds_write2_b32 v0, v1, v2 offset1:10
	v_perm_b32 v1, v33, v29, s6
	ds_write_b32 v0, v1 offset:80
.LBB0_5:
	s_or_b64 exec, exec, s[4:5]
	v_add_u32_e32 v4, 0x1000, v42
	s_waitcnt lgkmcnt(0)
	s_barrier
	v_add_u32_e32 v0, 0x500, v42
	ds_read2_b32 v[6:7], v4 offset0:56 offset1:218
	v_add_u32_e32 v4, 0xa00, v42
	ds_read2_b32 v[2:3], v42 offset1:162
	ds_read2_b32 v[0:1], v0 offset0:4 offset1:220
	ds_read2_b32 v[4:5], v4 offset0:62 offset1:224
	ds_read_b32 v23, v42 offset:5616
	s_and_saveexec_b64 s[4:5], s[0:1]
	s_cbranch_execz .LBB0_7
; %bb.6:
	ds_read_b32 v28, v42 offset:1944
	ds_read_b32 v27, v42 offset:4104
	;; [unrolled: 1-line block ×3, first 2 shown]
	s_waitcnt lgkmcnt(2)
	v_lshrrev_b32_e32 v30, 16, v28
	s_waitcnt lgkmcnt(1)
	v_lshrrev_b32_e32 v34, 16, v27
	;; [unrolled: 2-line block ×3, first 2 shown]
.LBB0_7:
	s_or_b64 exec, exec, s[4:5]
	s_movk_i32 s4, 0x89
	v_mul_lo_u16_sdwa v17, v51, s4 dst_sel:DWORD dst_unused:UNUSED_PAD src0_sel:BYTE_0 src1_sel:DWORD
	v_lshrrev_b16_e32 v61, 12, v17
	v_mul_lo_u16_e32 v17, 30, v61
	v_sub_u16_e32 v17, v51, v17
	v_and_b32_e32 v62, 0xff, v17
	v_lshlrev_b32_e32 v17, 3, v62
	global_load_dwordx2 v[17:18], v17, s[14:15] offset:80
	s_waitcnt lgkmcnt(2)
	v_lshrrev_b32_e32 v19, 16, v1
	v_lshrrev_b32_e32 v20, 16, v6
	s_mov_b32 s4, 0x8889
	v_mov_b32_e32 v66, s15
	s_waitcnt lgkmcnt(1)
	v_lshrrev_b32_e32 v21, 16, v4
	v_lshrrev_b32_e32 v22, 16, v7
	;; [unrolled: 1-line block ×3, first 2 shown]
	s_waitcnt lgkmcnt(0)
	v_lshrrev_b32_e32 v38, 16, v23
	v_lshrrev_b32_e32 v35, 16, v2
	s_mov_b32 s5, 0xbaee
	v_lshrrev_b32_e32 v36, 16, v3
	v_lshrrev_b32_e32 v37, 16, v0
	s_movk_i32 s6, 0x5a
	s_waitcnt vmcnt(0)
	v_mul_f16_sdwa v39, v19, v17 dst_sel:DWORD dst_unused:UNUSED_PAD src0_sel:DWORD src1_sel:WORD_1
	v_fma_f16 v39, v1, v17, -v39
	v_mul_f16_sdwa v1, v1, v17 dst_sel:DWORD dst_unused:UNUSED_PAD src0_sel:DWORD src1_sel:WORD_1
	v_fma_f16 v1, v19, v17, v1
	v_mul_f16_sdwa v19, v20, v18 dst_sel:DWORD dst_unused:UNUSED_PAD src0_sel:DWORD src1_sel:WORD_1
	v_fma_f16 v40, v6, v18, -v19
	v_mul_f16_sdwa v6, v6, v18 dst_sel:DWORD dst_unused:UNUSED_PAD src0_sel:DWORD src1_sel:WORD_1
	v_fma_f16 v63, v20, v18, v6
	v_mul_u32_u24_sdwa v6, v25, s4 dst_sel:DWORD dst_unused:UNUSED_PAD src0_sel:WORD_0 src1_sel:DWORD
	v_lshrrev_b32_e32 v64, 20, v6
	v_mul_lo_u16_e32 v6, 30, v64
	v_sub_u16_e32 v65, v25, v6
	v_lshlrev_b16_e32 v6, 3, v65
	v_add_co_u32_e32 v19, vcc, s14, v6
	v_addc_co_u32_e32 v20, vcc, 0, v66, vcc
	global_load_dwordx2 v[19:20], v[19:20], off offset:80
	s_waitcnt vmcnt(0)
	v_mul_f16_sdwa v6, v21, v19 dst_sel:DWORD dst_unused:UNUSED_PAD src0_sel:DWORD src1_sel:WORD_1
	v_fma_f16 v67, v4, v19, -v6
	v_mul_f16_sdwa v4, v4, v19 dst_sel:DWORD dst_unused:UNUSED_PAD src0_sel:DWORD src1_sel:WORD_1
	v_fma_f16 v68, v21, v19, v4
	v_mul_f16_sdwa v4, v22, v20 dst_sel:DWORD dst_unused:UNUSED_PAD src0_sel:DWORD src1_sel:WORD_1
	v_fma_f16 v71, v7, v20, -v4
	v_mul_f16_sdwa v4, v7, v20 dst_sel:DWORD dst_unused:UNUSED_PAD src0_sel:DWORD src1_sel:WORD_1
	v_fma_f16 v72, v22, v20, v4
	v_mul_u32_u24_sdwa v4, v31, s4 dst_sel:DWORD dst_unused:UNUSED_PAD src0_sel:WORD_0 src1_sel:DWORD
	v_lshrrev_b32_e32 v73, 20, v4
	v_mul_lo_u16_e32 v4, 30, v73
	v_sub_u16_e32 v74, v31, v4
	v_lshlrev_b16_e32 v4, 3, v74
	v_add_co_u32_e32 v6, vcc, s14, v4
	v_addc_co_u32_e32 v7, vcc, 0, v66, vcc
	global_load_dwordx2 v[21:22], v[6:7], off offset:80
	;; [unrolled: 17-line block ×3, first 2 shown]
	s_movk_i32 s4, 0x3aee
	s_waitcnt vmcnt(0)
	s_barrier
	v_mul_f16_sdwa v4, v34, v23 dst_sel:DWORD dst_unused:UNUSED_PAD src0_sel:DWORD src1_sel:WORD_1
	v_fma_f16 v4, v27, v23, -v4
	v_mul_f16_sdwa v5, v27, v23 dst_sel:DWORD dst_unused:UNUSED_PAD src0_sel:DWORD src1_sel:WORD_1
	v_mul_f16_sdwa v27, v33, v24 dst_sel:DWORD dst_unused:UNUSED_PAD src0_sel:DWORD src1_sel:WORD_1
	v_fma_f16 v66, v29, v24, -v27
	v_mul_f16_sdwa v27, v29, v24 dst_sel:DWORD dst_unused:UNUSED_PAD src0_sel:DWORD src1_sel:WORD_1
	v_fma_f16 v76, v33, v24, v27
	v_add_f16_e32 v27, v2, v39
	v_add_f16_e32 v77, v27, v40
	v_add_f16_e32 v27, v39, v40
	v_fma_f16 v2, v27, -0.5, v2
	v_sub_f16_e32 v27, v1, v63
	v_fma_f16 v78, v27, s4, v2
	v_fma_f16 v2, v27, s5, v2
	v_add_f16_e32 v27, v35, v1
	v_add_f16_e32 v1, v1, v63
	v_add_f16_e32 v79, v27, v63
	v_fma_f16 v1, v1, -0.5, v35
	v_sub_f16_e32 v27, v39, v40
	v_fma_f16 v80, v27, s5, v1
	;; [unrolled: 7-line block ×4, first 2 shown]
	v_fma_f16 v68, v29, s4, v27
	v_add_f16_e32 v29, v6, v75
	v_add_f16_e32 v27, v0, v6
	v_fma_f16 v0, v29, -0.5, v0
	v_sub_f16_e32 v29, v7, v38
	v_fma_f16 v5, v34, v23, v5
	v_fma_f16 v33, v29, s4, v0
	;; [unrolled: 1-line block ×3, first 2 shown]
	v_add_f16_e32 v0, v37, v7
	v_add_f16_e32 v29, v0, v38
	v_add_f16_e32 v0, v7, v38
	v_fma_f16 v0, v0, -0.5, v37
	v_sub_f16_e32 v6, v6, v75
	v_fma_f16 v37, v6, s5, v0
	v_fma_f16 v38, v6, s4, v0
	v_add_f16_e32 v0, v28, v4
	v_add_f16_e32 v35, v0, v66
	v_add_f16_e32 v0, v4, v66
	v_fma_f16 v0, v0, -0.5, v28
	v_sub_f16_e32 v6, v5, v76
	v_fma_f16 v28, v6, s4, v0
	v_fma_f16 v36, v6, s5, v0
	;; [unrolled: 7-line block ×3, first 2 shown]
	v_mul_u32_u24_e32 v0, 0x5a, v61
	v_add_lshl_u32 v63, v0, v62, 2
	v_pack_b32_f16 v0, v77, v79
	v_pack_b32_f16 v4, v78, v80
	ds_write2_b32 v63, v0, v4 offset1:30
	v_pack_b32_f16 v0, v2, v1
	ds_write_b32 v63, v0 offset:240
	v_mad_legacy_u16 v0, v64, s6, v65
	v_lshlrev_b32_e32 v64, 2, v0
	v_pack_b32_f16 v0, v81, v83
	v_pack_b32_f16 v1, v82, v67
	ds_write2_b32 v64, v0, v1 offset1:30
	v_pack_b32_f16 v0, v3, v68
	v_add_f16_e32 v27, v27, v75
	ds_write_b32 v64, v0 offset:240
	v_mad_legacy_u16 v0, v73, s6, v74
	v_lshlrev_b32_e32 v65, 2, v0
	v_pack_b32_f16 v0, v27, v29
	v_pack_b32_f16 v1, v33, v37
	ds_write2_b32 v65, v0, v1 offset1:30
	v_pack_b32_f16 v0, v34, v38
	ds_write_b32 v65, v0 offset:240
	s_and_saveexec_b64 s[4:5], s[0:1]
	s_cbranch_execz .LBB0_9
; %bb.8:
	v_mad_legacy_u16 v0, v55, s6, v56
	s_mov_b32 s6, 0x5040100
	v_lshlrev_b32_e32 v0, 2, v0
	v_perm_b32 v1, v39, v35, s6
	v_perm_b32 v2, v30, v28, s6
	ds_write2_b32 v0, v1, v2 offset1:30
	v_perm_b32 v1, v40, v36, s6
	ds_write_b32 v0, v1 offset:240
.LBB0_9:
	s_or_b64 exec, exec, s[4:5]
	s_waitcnt lgkmcnt(0)
	s_barrier
	ds_read_b32 v68, v42
	ds_read_b32 v75, v42 offset:1080
	ds_read_b32 v74, v42 offset:2160
	;; [unrolled: 1-line block ×5, first 2 shown]
	s_movk_i32 s4, 0x6c
	v_cmp_gt_u16_e64 s[4:5], s4, v51
	s_and_saveexec_b64 s[6:7], s[4:5]
	s_cbranch_execz .LBB0_11
; %bb.10:
	ds_read_b32 v27, v42 offset:648
	ds_read_b32 v33, v42 offset:1728
	;; [unrolled: 1-line block ×6, first 2 shown]
	s_waitcnt lgkmcnt(5)
	v_lshrrev_b32_e32 v29, 16, v27
	s_waitcnt lgkmcnt(4)
	v_lshrrev_b32_e32 v37, 16, v33
	;; [unrolled: 2-line block ×6, first 2 shown]
.LBB0_11:
	s_or_b64 exec, exec, s[6:7]
	s_movk_i32 s6, 0x5a
	v_add_u32_e32 v0, 0xffffffa6, v51
	v_cmp_gt_u16_e32 vcc, s6, v51
	v_cndmask_b32_e32 v78, v0, v51, vcc
	v_mul_i32_i24_e32 v1, 20, v78
	v_mul_hi_i32_i24_e32 v0, 20, v78
	v_mov_b32_e32 v6, s15
	v_add_co_u32_e32 v4, vcc, s14, v1
	v_addc_co_u32_e32 v5, vcc, v6, v0, vcc
	s_movk_i32 s6, 0x2d83
	global_load_dwordx4 v[0:3], v[4:5], off offset:320
	global_load_dword v66, v[4:5], off offset:336
	v_mul_u32_u24_sdwa v4, v25, s6 dst_sel:DWORD dst_unused:UNUSED_PAD src0_sel:WORD_0 src1_sel:DWORD
	v_lshrrev_b32_e32 v61, 20, v4
	v_mul_lo_u16_e32 v4, 0x5a, v61
	v_sub_u16_e32 v62, v25, v4
	v_mul_lo_u16_e32 v4, 20, v62
	v_add_co_u32_e32 v76, vcc, s14, v4
	v_addc_co_u32_e32 v77, vcc, 0, v6, vcc
	global_load_dwordx4 v[4:7], v[76:77], off offset:320
	global_load_dword v67, v[76:77], off offset:336
	s_waitcnt lgkmcnt(3)
	v_lshrrev_b32_e32 v79, 16, v74
	s_waitcnt lgkmcnt(1)
	v_lshrrev_b32_e32 v81, 16, v72
	v_lshrrev_b32_e32 v77, 16, v75
	v_lshrrev_b32_e32 v80, 16, v73
	v_lshrrev_b32_e32 v76, 16, v68
	s_waitcnt lgkmcnt(0)
	v_lshrrev_b32_e32 v82, 16, v71
	s_movk_i32 s6, 0x3aee
	s_mov_b32 s7, 0xbaee
	s_waitcnt vmcnt(0)
	s_barrier
	s_movk_i32 s12, 0x21c
	v_mul_f16_sdwa v85, v79, v1 dst_sel:DWORD dst_unused:UNUSED_PAD src0_sel:DWORD src1_sel:WORD_1
	v_mul_f16_sdwa v86, v74, v1 dst_sel:DWORD dst_unused:UNUSED_PAD src0_sel:DWORD src1_sel:WORD_1
	;; [unrolled: 1-line block ×7, first 2 shown]
	v_fma_f16 v74, v74, v1, -v85
	v_fma_f16 v79, v79, v1, v86
	v_fma_f16 v72, v72, v3, -v89
	v_fma_f16 v81, v81, v3, v90
	v_mul_f16_sdwa v88, v73, v2 dst_sel:DWORD dst_unused:UNUSED_PAD src0_sel:DWORD src1_sel:WORD_1
	v_mul_f16_sdwa v91, v82, v66 dst_sel:DWORD dst_unused:UNUSED_PAD src0_sel:DWORD src1_sel:WORD_1
	;; [unrolled: 1-line block ×3, first 2 shown]
	v_fma_f16 v75, v75, v0, -v83
	v_fma_f16 v77, v77, v0, v84
	v_fma_f16 v73, v73, v2, -v87
	v_add_f16_e32 v84, v74, v72
	v_sub_f16_e32 v85, v79, v81
	v_add_f16_e32 v86, v76, v79
	v_add_f16_e32 v79, v79, v81
	v_fma_f16 v80, v80, v2, v88
	v_fma_f16 v71, v71, v66, -v91
	v_fma_f16 v82, v82, v66, v92
	v_add_f16_e32 v83, v68, v74
	v_sub_f16_e32 v74, v74, v72
	v_add_f16_e32 v87, v75, v73
	v_mul_f16_sdwa v88, v37, v4 dst_sel:DWORD dst_unused:UNUSED_PAD src0_sel:DWORD src1_sel:WORD_1
	v_mul_f16_sdwa v95, v28, v7 dst_sel:DWORD dst_unused:UNUSED_PAD src0_sel:DWORD src1_sel:WORD_1
	;; [unrolled: 1-line block ×3, first 2 shown]
	v_fma_f16 v68, v84, -0.5, v68
	v_fma_f16 v76, v79, -0.5, v76
	v_mul_f16_sdwa v89, v33, v4 dst_sel:DWORD dst_unused:UNUSED_PAD src0_sel:DWORD src1_sel:WORD_1
	v_mul_f16_sdwa v94, v30, v7 dst_sel:DWORD dst_unused:UNUSED_PAD src0_sel:DWORD src1_sel:WORD_1
	;; [unrolled: 1-line block ×3, first 2 shown]
	v_add_f16_e32 v72, v83, v72
	v_add_f16_e32 v81, v86, v81
	;; [unrolled: 1-line block ×3, first 2 shown]
	v_fma_f16 v83, v33, v4, -v88
	v_fma_f16 v86, v30, v7, v95
	v_fma_f16 v87, v36, v67, -v96
	v_fma_f16 v30, v85, s6, v68
	v_fma_f16 v33, v85, s7, v68
	v_fma_f16 v36, v74, s7, v76
	v_fma_f16 v68, v74, s6, v76
	v_add_f16_e32 v76, v80, v82
	v_mul_f16_sdwa v92, v39, v6 dst_sel:DWORD dst_unused:UNUSED_PAD src0_sel:DWORD src1_sel:WORD_1
	v_add_f16_e32 v98, v73, v71
	v_fma_f16 v76, v76, -0.5, v77
	v_sub_f16_e32 v71, v73, v71
	v_mul_f16_sdwa v93, v35, v6 dst_sel:DWORD dst_unused:UNUSED_PAD src0_sel:DWORD src1_sel:WORD_1
	v_fma_f16 v84, v35, v6, -v92
	v_fma_f16 v35, v28, v7, -v94
	v_fma_f16 v28, v98, -0.5, v75
	v_sub_f16_e32 v74, v80, v82
	v_fma_f16 v73, v71, s7, v76
	v_mul_f16_sdwa v90, v38, v5 dst_sel:DWORD dst_unused:UNUSED_PAD src0_sel:DWORD src1_sel:WORD_1
	v_fma_f16 v75, v74, s6, v28
	v_fma_f16 v28, v74, s7, v28
	;; [unrolled: 1-line block ×3, first 2 shown]
	v_mul_f16_e32 v76, 0x3aee, v73
	v_mul_f16_sdwa v91, v34, v5 dst_sel:DWORD dst_unused:UNUSED_PAD src0_sel:DWORD src1_sel:WORD_1
	v_fma_f16 v34, v34, v5, -v90
	v_add_f16_e32 v74, v77, v80
	v_fma_f16 v76, v75, 0.5, v76
	v_mul_f16_e32 v77, -0.5, v28
	v_mul_f16_e32 v75, 0xbaee, v75
	v_fma_f16 v38, v38, v5, v91
	v_add_f16_e32 v74, v74, v82
	v_add_f16_e32 v82, v30, v76
	v_fma_f16 v77, v71, s6, v77
	v_fma_f16 v73, v73, 0.5, v75
	v_mul_f16_e32 v71, -0.5, v71
	v_sub_f16_e32 v90, v30, v76
	v_add_f16_e32 v30, v34, v35
	v_add_f16_e32 v85, v33, v77
	;; [unrolled: 1-line block ×3, first 2 shown]
	v_fma_f16 v28, v28, s7, v71
	v_sub_f16_e32 v91, v33, v77
	v_sub_f16_e32 v92, v36, v73
	v_fma_f16 v30, v30, -0.5, v27
	v_sub_f16_e32 v33, v38, v86
	v_add_f16_e32 v36, v38, v86
	v_fma_f16 v37, v37, v4, v89
	v_fma_f16 v39, v39, v6, v93
	;; [unrolled: 1-line block ×3, first 2 shown]
	v_add_f16_e32 v89, v68, v28
	v_sub_f16_e32 v93, v68, v28
	v_add_f16_e32 v28, v27, v34
	v_fma_f16 v27, v33, s6, v30
	v_fma_f16 v30, v33, s7, v30
	v_add_f16_e32 v33, v29, v38
	v_fma_f16 v29, v36, -0.5, v29
	v_add_f16_e32 v36, v84, v87
	v_fma_f16 v36, v36, -0.5, v83
	v_sub_f16_e32 v38, v39, v40
	v_fma_f16 v68, v38, s6, v36
	v_fma_f16 v71, v38, s7, v36
	v_add_f16_e32 v38, v39, v40
	v_add_f16_e32 v36, v37, v39
	v_fma_f16 v37, v38, -0.5, v37
	v_sub_f16_e32 v38, v84, v87
	v_fma_f16 v39, v38, s7, v37
	v_add_f16_e32 v28, v28, v35
	v_sub_f16_e32 v35, v34, v35
	v_add_f16_e32 v36, v36, v40
	v_fma_f16 v40, v38, s6, v37
	v_mul_f16_e32 v37, 0x3aee, v39
	v_mul_f16_e32 v38, -0.5, v71
	v_fma_f16 v34, v35, s7, v29
	v_fma_f16 v35, v35, s6, v29
	v_fma_f16 v37, v68, 0.5, v37
	v_fma_f16 v38, v40, s6, v38
	v_mul_f16_e32 v68, 0xbaee, v68
	s_movk_i32 s6, 0x59
	v_fma_f16 v39, v39, 0.5, v68
	v_mov_b32_e32 v68, 0x21c
	v_cmp_lt_u16_e32 vcc, s6, v51
	v_add_f16_e32 v80, v72, v79
	v_add_f16_e32 v88, v81, v74
	v_cndmask_b32_e32 v68, 0, v68, vcc
	v_sub_f16_e32 v79, v72, v79
	v_sub_f16_e32 v81, v81, v74
	v_add_f16_e32 v29, v83, v84
	v_mul_f16_e32 v40, -0.5, v40
	v_add_lshl_u32 v68, v78, v68, 2
	v_pack_b32_f16 v78, v80, v88
	v_pack_b32_f16 v75, v82, v75
	v_add_f16_e32 v33, v33, v86
	v_add_f16_e32 v29, v29, v87
	v_fma_f16 v40, v71, s7, v40
	ds_write2_b32 v68, v78, v75 offset1:90
	v_pack_b32_f16 v75, v85, v89
	v_pack_b32_f16 v78, v79, v81
	v_add_u32_e32 v79, 0x200, v68
	v_sub_f16_e32 v73, v28, v29
	v_sub_f16_e32 v71, v27, v37
	;; [unrolled: 1-line block ×6, first 2 shown]
	ds_write2_b32 v79, v75, v78 offset0:52 offset1:142
	v_pack_b32_f16 v75, v90, v92
	v_pack_b32_f16 v78, v91, v93
	v_add_u32_e32 v79, 0x400, v68
	ds_write2_b32 v79, v75, v78 offset0:104 offset1:194
	s_and_saveexec_b64 s[6:7], s[4:5]
	s_cbranch_execz .LBB0_13
; %bb.12:
	v_add_f16_e32 v34, v34, v39
	v_add_f16_e32 v33, v33, v36
	v_add_f16_e32 v27, v27, v37
	v_add_f16_e32 v28, v28, v29
	v_mad_legacy_u16 v29, v61, s12, v62
	v_add_f16_e32 v35, v35, v40
	v_add_f16_e32 v30, v30, v38
	v_lshlrev_b32_e32 v29, 2, v29
	v_pack_b32_f16 v28, v28, v33
	v_pack_b32_f16 v27, v27, v34
	s_mov_b32 s12, 0x5040100
	ds_write2_b32 v29, v28, v27 offset1:90
	v_pack_b32_f16 v27, v30, v35
	v_perm_b32 v28, v74, v73, s12
	v_add_u32_e32 v30, 0x200, v29
	ds_write2_b32 v30, v27, v28 offset0:52 offset1:142
	v_perm_b32 v27, v76, v71, s12
	v_perm_b32 v28, v77, v72, s12
	v_add_u32_e32 v29, 0x400, v29
	ds_write2_b32 v29, v27, v28 offset0:104 offset1:194
.LBB0_13:
	s_or_b64 exec, exec, s[6:7]
	v_add_u32_e32 v27, 0x500, v42
	s_waitcnt lgkmcnt(0)
	s_barrier
	ds_read2_b32 v[33:34], v27 offset0:4 offset1:220
	v_add_u32_e32 v27, 0x1000, v42
	v_add_u32_e32 v75, 0xa00, v42
	ds_read2_b32 v[35:36], v42 offset1:162
	ds_read2_b32 v[37:38], v27 offset0:56 offset1:218
	ds_read2_b32 v[39:40], v75 offset0:62 offset1:224
	ds_read_b32 v78, v42 offset:5616
	s_and_saveexec_b64 s[6:7], s[0:1]
	s_cbranch_execz .LBB0_15
; %bb.14:
	ds_read_b32 v73, v42 offset:1944
	ds_read_b32 v71, v42 offset:4104
	ds_read_b32 v72, v42 offset:6264
	s_waitcnt lgkmcnt(2)
	v_lshrrev_b32_e32 v74, 16, v73
	s_waitcnt lgkmcnt(1)
	v_lshrrev_b32_e32 v76, 16, v71
	;; [unrolled: 2-line block ×3, first 2 shown]
.LBB0_15:
	s_or_b64 exec, exec, s[6:7]
	v_lshlrev_b64 v[25:26], 3, v[25:26]
	v_mov_b32_e32 v79, s15
	v_add_co_u32_e32 v25, vcc, s14, v25
	v_lshlrev_b32_e32 v27, 3, v51
	v_addc_co_u32_e32 v26, vcc, v79, v26, vcc
	global_load_dwordx2 v[27:28], v27, s[14:15] offset:2120
	s_movk_i32 s6, 0xffca
	global_load_dwordx2 v[29:30], v[25:26], off offset:2120
	v_lshlrev_b64 v[25:26], 3, v[31:32]
	s_waitcnt lgkmcnt(1)
	v_lshrrev_b32_e32 v81, 16, v39
	v_add_co_u32_e32 v25, vcc, s14, v25
	v_addc_co_u32_e32 v26, vcc, v79, v26, vcc
	global_load_dwordx2 v[31:32], v[25:26], off offset:2120
	v_add_co_u32_e32 v25, vcc, s6, v51
	v_addc_co_u32_e64 v26, s[6:7], 0, -1, vcc
	v_cndmask_b32_e64 v26, v26, v70, s[0:1]
	v_cndmask_b32_e64 v25, v25, v69, s[0:1]
	v_lshlrev_b64 v[25:26], 3, v[25:26]
	v_lshrrev_b32_e32 v70, 16, v34
	v_add_co_u32_e32 v25, vcc, s14, v25
	v_addc_co_u32_e32 v26, vcc, v79, v26, vcc
	global_load_dwordx2 v[25:26], v[25:26], off offset:2120
	v_lshrrev_b32_e32 v79, 16, v37
	v_lshrrev_b32_e32 v82, 16, v38
	;; [unrolled: 1-line block ×4, first 2 shown]
	s_movk_i32 s6, 0x3aee
	s_mov_b32 s7, 0xbaee
	v_lshrrev_b32_e32 v80, 16, v36
	s_waitcnt lgkmcnt(0)
	v_lshrrev_b32_e32 v85, 16, v78
	v_lshrrev_b32_e32 v83, 16, v33
	s_waitcnt vmcnt(3)
	v_mul_f16_sdwa v86, v70, v27 dst_sel:DWORD dst_unused:UNUSED_PAD src0_sel:DWORD src1_sel:WORD_1
	v_mul_f16_sdwa v87, v34, v27 dst_sel:DWORD dst_unused:UNUSED_PAD src0_sel:DWORD src1_sel:WORD_1
	;; [unrolled: 1-line block ×4, first 2 shown]
	v_fma_f16 v34, v34, v27, -v86
	v_fma_f16 v70, v70, v27, v87
	v_fma_f16 v37, v37, v28, -v88
	v_fma_f16 v79, v79, v28, v89
	s_waitcnt vmcnt(2)
	v_mul_f16_sdwa v86, v81, v29 dst_sel:DWORD dst_unused:UNUSED_PAD src0_sel:DWORD src1_sel:WORD_1
	v_mul_f16_sdwa v88, v82, v30 dst_sel:DWORD dst_unused:UNUSED_PAD src0_sel:DWORD src1_sel:WORD_1
	;; [unrolled: 1-line block ×4, first 2 shown]
	v_add_f16_e32 v94, v35, v34
	v_sub_f16_e32 v96, v70, v79
	v_add_f16_e32 v97, v69, v70
	v_add_f16_e32 v70, v70, v79
	v_fma_f16 v39, v39, v29, -v86
	v_fma_f16 v86, v38, v30, -v88
	s_waitcnt vmcnt(1)
	v_mul_f16_sdwa v90, v84, v31 dst_sel:DWORD dst_unused:UNUSED_PAD src0_sel:DWORD src1_sel:WORD_1
	v_mul_f16_sdwa v91, v40, v31 dst_sel:DWORD dst_unused:UNUSED_PAD src0_sel:DWORD src1_sel:WORD_1
	v_add_f16_e32 v95, v34, v37
	v_sub_f16_e32 v34, v34, v37
	v_fma_f16 v81, v81, v29, v87
	v_fma_f16 v82, v82, v30, v89
	v_add_f16_e32 v87, v94, v37
	v_fma_f16 v37, v70, -0.5, v69
	v_add_f16_e32 v69, v39, v86
	v_fma_f16 v40, v40, v31, -v90
	v_fma_f16 v84, v84, v31, v91
	v_fma_f16 v35, v95, -0.5, v35
	v_fma_f16 v90, v34, s7, v37
	v_fma_f16 v91, v34, s6, v37
	v_add_f16_e32 v34, v36, v39
	s_waitcnt vmcnt(0)
	v_mul_f16_sdwa v37, v71, v25 dst_sel:DWORD dst_unused:UNUSED_PAD src0_sel:DWORD src1_sel:WORD_1
	v_fma_f16 v36, v69, -0.5, v36
	v_sub_f16_e32 v69, v81, v82
	v_mul_f16_sdwa v92, v85, v32 dst_sel:DWORD dst_unused:UNUSED_PAD src0_sel:DWORD src1_sel:WORD_1
	v_fma_f16 v88, v96, s6, v35
	v_fma_f16 v89, v96, s7, v35
	v_mul_f16_sdwa v35, v76, v25 dst_sel:DWORD dst_unused:UNUSED_PAD src0_sel:DWORD src1_sel:WORD_1
	v_mul_f16_sdwa v38, v77, v26 dst_sel:DWORD dst_unused:UNUSED_PAD src0_sel:DWORD src1_sel:WORD_1
	;; [unrolled: 1-line block ×3, first 2 shown]
	v_fma_f16 v37, v76, v25, v37
	v_fma_f16 v76, v69, s6, v36
	;; [unrolled: 1-line block ×3, first 2 shown]
	v_add_f16_e32 v69, v80, v81
	v_mul_f16_sdwa v93, v78, v32 dst_sel:DWORD dst_unused:UNUSED_PAD src0_sel:DWORD src1_sel:WORD_1
	v_fma_f16 v78, v78, v32, -v92
	v_add_f16_e32 v92, v34, v86
	v_fma_f16 v34, v71, v25, -v35
	v_fma_f16 v35, v72, v26, -v38
	v_fma_f16 v38, v77, v26, v70
	v_add_f16_e32 v77, v69, v82
	v_add_f16_e32 v69, v81, v82
	v_fma_f16 v69, v69, -0.5, v80
	v_sub_f16_e32 v39, v39, v86
	v_fma_f16 v80, v39, s7, v69
	v_fma_f16 v39, v39, s6, v69
	v_add_f16_e32 v69, v33, v40
	v_fma_f16 v85, v85, v32, v93
	v_add_f16_e32 v81, v69, v78
	v_add_f16_e32 v69, v40, v78
	v_fma_f16 v33, v69, -0.5, v33
	v_sub_f16_e32 v69, v84, v85
	v_fma_f16 v82, v69, s6, v33
	v_fma_f16 v33, v69, s7, v33
	v_add_f16_e32 v69, v83, v84
	v_add_f16_e32 v86, v69, v85
	;; [unrolled: 1-line block ×3, first 2 shown]
	v_fma_f16 v69, v69, -0.5, v83
	v_sub_f16_e32 v40, v40, v78
	v_fma_f16 v78, v40, s7, v69
	v_fma_f16 v40, v40, s6, v69
	v_add_f16_e32 v69, v34, v35
	v_fma_f16 v70, v69, -0.5, v73
	v_sub_f16_e32 v71, v37, v38
	v_fma_f16 v69, v71, s6, v70
	v_fma_f16 v70, v71, s7, v70
	v_add_f16_e32 v71, v37, v38
	v_fma_f16 v71, v71, -0.5, v74
	v_sub_f16_e32 v83, v34, v35
	v_add_f16_e32 v79, v97, v79
	v_fma_f16 v72, v83, s7, v71
	v_fma_f16 v71, v83, s6, v71
	v_pack_b32_f16 v83, v88, v90
	v_pack_b32_f16 v79, v87, v79
	ds_write_b32 v42, v83 offset:2160
	v_pack_b32_f16 v83, v89, v91
	v_pack_b32_f16 v77, v92, v77
	;; [unrolled: 1-line block ×3, first 2 shown]
	ds_write_b32 v42, v83 offset:4320
	ds_write2_b32 v42, v79, v77 offset1:162
	ds_write_b32 v42, v36 offset:4968
	v_pack_b32_f16 v36, v81, v86
	v_pack_b32_f16 v76, v76, v80
	ds_write_b32 v42, v36 offset:1296
	v_pack_b32_f16 v36, v82, v78
	v_pack_b32_f16 v33, v33, v40
	ds_write2_b32 v75, v76, v36 offset0:62 offset1:224
	ds_write_b32 v42, v33 offset:5616
	s_and_saveexec_b64 s[6:7], s[0:1]
	s_cbranch_execz .LBB0_17
; %bb.16:
	v_add_f16_e32 v33, v74, v37
	v_add_f16_e32 v34, v73, v34
	;; [unrolled: 1-line block ×4, first 2 shown]
	v_pack_b32_f16 v33, v34, v33
	s_mov_b32 s12, 0x5040100
	ds_write_b32 v42, v33 offset:1944
	v_perm_b32 v33, v72, v69, s12
	ds_write_b32 v42, v33 offset:4104
	v_perm_b32 v33, v71, v70, s12
	ds_write_b32 v42, v33 offset:6264
.LBB0_17:
	s_or_b64 exec, exec, s[6:7]
	v_mov_b32_e32 v33, s13
	v_addc_co_u32_e64 v37, vcc, 0, v33, s[2:3]
	v_add_co_u32_e32 v33, vcc, 0x1950, v53
	s_mov_b64 s[2:3], vcc
	v_add_co_u32_e32 v34, vcc, 0x1000, v53
	v_addc_co_u32_e32 v35, vcc, 0, v37, vcc
	s_waitcnt lgkmcnt(0)
	s_barrier
	global_load_dword v38, v[34:35], off offset:2384
	v_addc_co_u32_e64 v34, vcc, 0, v37, s[2:3]
	global_load_dword v39, v[33:34], off offset:648
	s_movk_i32 s2, 0x2000
	global_load_dword v73, v[33:34], off offset:1296
	global_load_dword v74, v[33:34], off offset:1944
	;; [unrolled: 1-line block ×3, first 2 shown]
	v_add_co_u32_e32 v35, vcc, s2, v53
	v_addc_co_u32_e32 v36, vcc, 0, v37, vcc
	global_load_dword v76, v[33:34], off offset:3240
	global_load_dword v77, v[35:36], off offset:2824
	;; [unrolled: 1-line block ×4, first 2 shown]
	s_movk_i32 s2, 0x3000
	v_add_co_u32_e32 v33, vcc, s2, v53
	v_addc_co_u32_e32 v34, vcc, 0, v37, vcc
	global_load_dword v53, v[33:34], off offset:24
	ds_read2_b32 v[33:34], v42 offset1:162
	v_add_u32_e32 v80, 0x400, v42
	v_add_u32_e32 v81, 0xa00, v42
	;; [unrolled: 1-line block ×3, first 2 shown]
	s_mov_b32 s2, 0xbb9c
	s_waitcnt lgkmcnt(0)
	v_lshrrev_b32_e32 v35, 16, v33
	v_lshrrev_b32_e32 v36, 16, v34
	s_movk_i32 s7, 0x3b9c
	s_mov_b32 s3, 0xb8b4
	s_movk_i32 s12, 0x38b4
	s_movk_i32 s6, 0x34f2
	s_waitcnt vmcnt(9)
	v_mul_f16_sdwa v37, v35, v38 dst_sel:DWORD dst_unused:UNUSED_PAD src0_sel:DWORD src1_sel:WORD_1
	v_mul_f16_sdwa v40, v33, v38 dst_sel:DWORD dst_unused:UNUSED_PAD src0_sel:DWORD src1_sel:WORD_1
	v_fma_f16 v33, v33, v38, -v37
	s_waitcnt vmcnt(8)
	v_mul_f16_sdwa v83, v36, v39 dst_sel:DWORD dst_unused:UNUSED_PAD src0_sel:DWORD src1_sel:WORD_1
	v_mul_f16_sdwa v84, v34, v39 dst_sel:DWORD dst_unused:UNUSED_PAD src0_sel:DWORD src1_sel:WORD_1
	v_fma_f16 v35, v35, v38, v40
	v_fma_f16 v34, v34, v39, -v83
	v_fma_f16 v36, v36, v39, v84
	v_pack_b32_f16 v33, v33, v35
	v_pack_b32_f16 v34, v34, v36
	ds_write2_b32 v42, v33, v34 offset1:162
	ds_read2_b32 v[33:34], v80 offset0:68 offset1:230
	v_add_u32_e32 v83, 0x1400, v42
	ds_read2_b32 v[35:36], v81 offset0:8 offset1:170
	ds_read2_b32 v[37:38], v82 offset0:76 offset1:238
	;; [unrolled: 1-line block ×3, first 2 shown]
	s_waitcnt lgkmcnt(3)
	v_lshrrev_b32_e32 v84, 16, v33
	s_waitcnt vmcnt(7)
	v_mul_f16_sdwa v85, v33, v73 dst_sel:DWORD dst_unused:UNUSED_PAD src0_sel:DWORD src1_sel:WORD_1
	v_lshrrev_b32_e32 v86, 16, v34
	s_waitcnt vmcnt(6)
	v_mul_f16_sdwa v87, v34, v74 dst_sel:DWORD dst_unused:UNUSED_PAD src0_sel:DWORD src1_sel:WORD_1
	s_waitcnt lgkmcnt(2)
	v_lshrrev_b32_e32 v88, 16, v35
	s_waitcnt vmcnt(5)
	v_mul_f16_sdwa v89, v35, v75 dst_sel:DWORD dst_unused:UNUSED_PAD src0_sel:DWORD src1_sel:WORD_1
	v_lshrrev_b32_e32 v90, 16, v36
	s_waitcnt vmcnt(4)
	v_mul_f16_sdwa v91, v36, v76 dst_sel:DWORD dst_unused:UNUSED_PAD src0_sel:DWORD src1_sel:WORD_1
	s_waitcnt lgkmcnt(1)
	v_lshrrev_b32_e32 v92, 16, v37
	s_waitcnt vmcnt(2)
	v_mul_f16_sdwa v93, v37, v78 dst_sel:DWORD dst_unused:UNUSED_PAD src0_sel:DWORD src1_sel:WORD_1
	v_lshrrev_b32_e32 v94, 16, v38
	v_mul_f16_sdwa v96, v84, v73 dst_sel:DWORD dst_unused:UNUSED_PAD src0_sel:DWORD src1_sel:WORD_1
	v_fma_f16 v84, v84, v73, v85
	v_mul_f16_sdwa v85, v86, v74 dst_sel:DWORD dst_unused:UNUSED_PAD src0_sel:DWORD src1_sel:WORD_1
	v_mul_f16_sdwa v95, v38, v77 dst_sel:DWORD dst_unused:UNUSED_PAD src0_sel:DWORD src1_sel:WORD_1
	v_fma_f16 v86, v86, v74, v87
	v_mul_f16_sdwa v87, v88, v75 dst_sel:DWORD dst_unused:UNUSED_PAD src0_sel:DWORD src1_sel:WORD_1
	v_fma_f16 v88, v88, v75, v89
	;; [unrolled: 2-line block ×4, first 2 shown]
	v_mul_f16_sdwa v93, v94, v77 dst_sel:DWORD dst_unused:UNUSED_PAD src0_sel:DWORD src1_sel:WORD_1
	v_fma_f16 v33, v33, v73, -v96
	v_fma_f16 v34, v34, v74, -v85
	v_fma_f16 v94, v94, v77, v95
	v_fma_f16 v35, v35, v75, -v87
	v_fma_f16 v36, v36, v76, -v89
	;; [unrolled: 1-line block ×4, first 2 shown]
	v_pack_b32_f16 v33, v33, v84
	v_pack_b32_f16 v34, v34, v86
	;; [unrolled: 1-line block ×6, first 2 shown]
	ds_write2_b32 v80, v33, v34 offset0:68 offset1:230
	ds_write2_b32 v81, v35, v36 offset0:8 offset1:170
	ds_write2_b32 v82, v37, v38 offset0:76 offset1:238
	s_waitcnt lgkmcnt(3)
	v_lshrrev_b32_e32 v33, 16, v39
	s_waitcnt vmcnt(1)
	v_mul_f16_sdwa v34, v33, v79 dst_sel:DWORD dst_unused:UNUSED_PAD src0_sel:DWORD src1_sel:WORD_1
	v_mul_f16_sdwa v35, v39, v79 dst_sel:DWORD dst_unused:UNUSED_PAD src0_sel:DWORD src1_sel:WORD_1
	v_fma_f16 v34, v39, v79, -v34
	v_fma_f16 v33, v33, v79, v35
	v_pack_b32_f16 v33, v34, v33
	v_lshrrev_b32_e32 v34, 16, v40
	s_waitcnt vmcnt(0)
	v_mul_f16_sdwa v35, v34, v53 dst_sel:DWORD dst_unused:UNUSED_PAD src0_sel:DWORD src1_sel:WORD_1
	v_mul_f16_sdwa v36, v40, v53 dst_sel:DWORD dst_unused:UNUSED_PAD src0_sel:DWORD src1_sel:WORD_1
	v_fma_f16 v35, v40, v53, -v35
	v_fma_f16 v34, v34, v53, v36
	v_pack_b32_f16 v34, v35, v34
	ds_write2_b32 v83, v33, v34 offset0:16 offset1:178
	s_waitcnt lgkmcnt(0)
	s_barrier
	ds_read2_b32 v[33:34], v42 offset1:162
	ds_read2_b32 v[35:36], v81 offset0:8 offset1:170
	ds_read2_b32 v[37:38], v82 offset0:76 offset1:238
	;; [unrolled: 1-line block ×4, first 2 shown]
	s_waitcnt lgkmcnt(0)
	s_barrier
	v_add_f16_e32 v53, v35, v37
	v_fma_f16 v53, v53, -0.5, v33
	v_sub_f16_sdwa v75, v39, v73 dst_sel:DWORD dst_unused:UNUSED_PAD src0_sel:WORD_1 src1_sel:WORD_1
	v_fma_f16 v76, v75, s2, v53
	v_sub_f16_sdwa v77, v35, v37 dst_sel:DWORD dst_unused:UNUSED_PAD src0_sel:WORD_1 src1_sel:WORD_1
	v_sub_f16_e32 v78, v73, v37
	v_sub_f16_e32 v79, v39, v35
	v_fma_f16 v53, v75, s7, v53
	v_fma_f16 v76, v77, s3, v76
	v_add_f16_e32 v78, v79, v78
	v_fma_f16 v53, v77, s12, v53
	v_fma_f16 v76, v78, s6, v76
	;; [unrolled: 1-line block ×3, first 2 shown]
	v_add_f16_e32 v78, v39, v73
	v_fma_f16 v78, v78, -0.5, v33
	v_fma_f16 v79, v77, s7, v78
	v_sub_f16_e32 v80, v37, v73
	v_sub_f16_e32 v82, v35, v39
	v_fma_f16 v77, v77, s2, v78
	v_fma_f16 v79, v75, s3, v79
	v_add_f16_e32 v80, v82, v80
	v_fma_f16 v75, v75, s12, v77
	v_pk_add_f16 v77, v33, v39
	v_add_f16_sdwa v78, v35, v37 dst_sel:DWORD dst_unused:UNUSED_PAD src0_sel:WORD_1 src1_sel:WORD_1
	v_lshrrev_b32_e32 v33, 16, v33
	v_fma_f16 v79, v80, s6, v79
	v_fma_f16 v75, v80, s6, v75
	v_fma_f16 v78, v78, -0.5, v33
	v_sub_f16_e32 v80, v39, v73
	v_fma_f16 v82, v80, s7, v78
	v_sub_f16_e32 v83, v35, v37
	v_sub_f16_sdwa v84, v39, v35 dst_sel:DWORD dst_unused:UNUSED_PAD src0_sel:WORD_1 src1_sel:WORD_1
	v_sub_f16_sdwa v85, v73, v37 dst_sel:DWORD dst_unused:UNUSED_PAD src0_sel:WORD_1 src1_sel:WORD_1
	v_fma_f16 v78, v80, s2, v78
	v_fma_f16 v82, v83, s12, v82
	v_add_f16_e32 v84, v84, v85
	v_fma_f16 v78, v83, s3, v78
	v_fma_f16 v82, v84, s6, v82
	;; [unrolled: 1-line block ×3, first 2 shown]
	v_add_f16_sdwa v84, v39, v73 dst_sel:DWORD dst_unused:UNUSED_PAD src0_sel:WORD_1 src1_sel:WORD_1
	v_pk_add_f16 v77, v77, v35
	v_fma_f16 v33, v84, -0.5, v33
	v_pk_add_f16 v77, v77, v37
	v_fma_f16 v84, v83, s2, v33
	v_sub_f16_sdwa v35, v35, v39 dst_sel:DWORD dst_unused:UNUSED_PAD src0_sel:WORD_1 src1_sel:WORD_1
	v_sub_f16_sdwa v37, v37, v73 dst_sel:DWORD dst_unused:UNUSED_PAD src0_sel:WORD_1 src1_sel:WORD_1
	v_fma_f16 v33, v83, s7, v33
	v_fma_f16 v84, v80, s12, v84
	v_add_f16_e32 v35, v35, v37
	v_fma_f16 v33, v80, s3, v33
	v_fma_f16 v37, v35, s6, v84
	;; [unrolled: 1-line block ×3, first 2 shown]
	v_add_f16_e32 v33, v36, v38
	v_fma_f16 v33, v33, -0.5, v34
	v_sub_f16_sdwa v39, v40, v74 dst_sel:DWORD dst_unused:UNUSED_PAD src0_sel:WORD_1 src1_sel:WORD_1
	v_pk_add_f16 v77, v77, v73
	v_fma_f16 v73, v39, s2, v33
	v_sub_f16_sdwa v80, v36, v38 dst_sel:DWORD dst_unused:UNUSED_PAD src0_sel:WORD_1 src1_sel:WORD_1
	v_sub_f16_e32 v83, v74, v38
	v_sub_f16_e32 v84, v40, v36
	v_fma_f16 v33, v39, s7, v33
	v_fma_f16 v73, v80, s3, v73
	v_add_f16_e32 v83, v84, v83
	v_fma_f16 v33, v80, s12, v33
	v_fma_f16 v73, v83, s6, v73
	;; [unrolled: 1-line block ×3, first 2 shown]
	v_add_f16_e32 v33, v40, v74
	v_fma_f16 v33, v33, -0.5, v34
	v_fma_f16 v84, v80, s7, v33
	v_sub_f16_e32 v85, v38, v74
	v_sub_f16_e32 v86, v36, v40
	v_fma_f16 v33, v80, s2, v33
	v_add_f16_e32 v85, v86, v85
	v_fma_f16 v33, v39, s12, v33
	v_fma_f16 v84, v39, s3, v84
	;; [unrolled: 1-line block ×3, first 2 shown]
	v_pk_add_f16 v33, v34, v40
	v_pk_add_f16 v33, v33, v36
	;; [unrolled: 1-line block ×4, first 2 shown]
	v_add_f16_sdwa v33, v36, v38 dst_sel:DWORD dst_unused:UNUSED_PAD src0_sel:WORD_1 src1_sel:WORD_1
	v_lshrrev_b32_e32 v34, 16, v34
	v_fma_f16 v84, v85, s6, v84
	v_fma_f16 v33, v33, -0.5, v34
	v_sub_f16_e32 v85, v40, v74
	v_fma_f16 v86, v85, s7, v33
	v_sub_f16_e32 v87, v36, v38
	v_sub_f16_sdwa v88, v40, v36 dst_sel:DWORD dst_unused:UNUSED_PAD src0_sel:WORD_1 src1_sel:WORD_1
	v_sub_f16_sdwa v89, v74, v38 dst_sel:DWORD dst_unused:UNUSED_PAD src0_sel:WORD_1 src1_sel:WORD_1
	v_fma_f16 v33, v85, s2, v33
	v_fma_f16 v86, v87, s12, v86
	v_add_f16_e32 v88, v88, v89
	v_fma_f16 v33, v87, s3, v33
	v_fma_f16 v86, v88, s6, v86
	;; [unrolled: 1-line block ×3, first 2 shown]
	v_add_f16_sdwa v33, v40, v74 dst_sel:DWORD dst_unused:UNUSED_PAD src0_sel:WORD_1 src1_sel:WORD_1
	v_fma_f16 v33, v33, -0.5, v34
	v_fma_f16 v34, v87, s2, v33
	v_sub_f16_sdwa v36, v36, v40 dst_sel:DWORD dst_unused:UNUSED_PAD src0_sel:WORD_1 src1_sel:WORD_1
	v_sub_f16_sdwa v38, v38, v74 dst_sel:DWORD dst_unused:UNUSED_PAD src0_sel:WORD_1 src1_sel:WORD_1
	v_fma_f16 v33, v87, s7, v33
	v_fma_f16 v34, v85, s12, v34
	v_add_f16_e32 v36, v36, v38
	v_fma_f16 v33, v85, s3, v33
	v_fma_f16 v34, v36, s6, v34
	;; [unrolled: 1-line block ×3, first 2 shown]
	v_mul_f16_e32 v33, 0xb8b4, v86
	s_movk_i32 s2, 0x3a79
	v_fma_f16 v38, v73, s2, v33
	v_mul_f16_e32 v33, 0xbb9c, v34
	v_fma_f16 v74, v84, s6, v33
	v_mul_f16_e32 v33, 0xbb9c, v36
	s_mov_b32 s3, 0xb4f2
	v_mul_f16_e32 v73, 0x38b4, v73
	v_mul_f16_e32 v34, 0x34f2, v34
	v_mul_f16_e32 v36, 0xb4f2, v36
	v_fma_f16 v87, v39, s3, v33
	v_mul_f16_e32 v33, 0xb8b4, v88
	s_mov_b32 s3, 0xba79
	v_fma_f16 v73, v86, s2, v73
	v_fma_f16 v34, v84, s7, v34
	;; [unrolled: 1-line block ×3, first 2 shown]
	v_mul_f16_e32 v88, 0xba79, v88
	v_add_f16_e32 v40, v76, v38
	v_add_f16_e32 v85, v79, v74
	;; [unrolled: 1-line block ×3, first 2 shown]
	v_fma_f16 v90, v83, s3, v33
	v_add_f16_e32 v86, v82, v73
	v_add_f16_e32 v84, v37, v34
	v_add_f16_e32 v39, v35, v36
	v_fma_f16 v83, v83, s12, v88
	v_add_f16_e32 v91, v53, v90
	v_pk_add_f16 v33, v77, v80
	v_add_f16_e32 v88, v78, v83
	v_sub_f16_e32 v38, v76, v38
	v_sub_f16_e32 v74, v79, v74
	;; [unrolled: 1-line block ×5, first 2 shown]
	v_pack_b32_f16 v36, v89, v39
	v_pack_b32_f16 v35, v85, v84
	;; [unrolled: 1-line block ×3, first 2 shown]
	v_sub_f16_e32 v75, v75, v87
	v_sub_f16_e32 v53, v53, v90
	;; [unrolled: 1-line block ×3, first 2 shown]
	ds_write2_b64 v54, v[33:34], v[35:36] offset1:1
	v_pk_add_f16 v34, v77, v80 neg_lo:[0,1] neg_hi:[0,1]
	v_pack_b32_f16 v36, v74, v37
	v_pack_b32_f16 v35, v38, v76
	;; [unrolled: 1-line block ×3, first 2 shown]
	ds_write2_b64 v54, v[33:34], v[35:36] offset0:2 offset1:3
	v_pack_b32_f16 v34, v53, v73
	v_pack_b32_f16 v33, v75, v79
	ds_write_b64 v54, v[33:34] offset:32
	v_add_u32_e32 v33, 0x500, v42
	v_add_u32_e32 v37, 0x1000, v42
	s_waitcnt lgkmcnt(0)
	s_barrier
	ds_read2_b32 v[35:36], v42 offset1:162
	ds_read2_b32 v[33:34], v33 offset0:4 offset1:220
	ds_read2_b32 v[39:40], v37 offset0:56 offset1:218
	;; [unrolled: 1-line block ×3, first 2 shown]
	ds_read_b32 v54, v42 offset:5616
	s_and_saveexec_b64 s[2:3], s[0:1]
	s_cbranch_execz .LBB0_19
; %bb.18:
	ds_read_b32 v53, v42 offset:1944
	ds_read_b32 v69, v42 offset:4104
	;; [unrolled: 1-line block ×3, first 2 shown]
	s_waitcnt lgkmcnt(2)
	v_lshrrev_b32_e32 v73, 16, v53
	s_waitcnt lgkmcnt(1)
	v_lshrrev_b32_e32 v72, 16, v69
	;; [unrolled: 2-line block ×3, first 2 shown]
.LBB0_19:
	s_or_b64 exec, exec, s[2:3]
	s_waitcnt lgkmcnt(3)
	v_lshrrev_b32_e32 v75, 16, v34
	v_mul_f16_sdwa v83, v11, v75 dst_sel:DWORD dst_unused:UNUSED_PAD src0_sel:WORD_1 src1_sel:DWORD
	s_waitcnt lgkmcnt(2)
	v_lshrrev_b32_e32 v76, 16, v39
	v_fma_f16 v83, v11, v34, v83
	v_mul_f16_sdwa v34, v11, v34 dst_sel:DWORD dst_unused:UNUSED_PAD src0_sel:WORD_1 src1_sel:DWORD
	v_fma_f16 v11, v11, v75, -v34
	v_mul_f16_sdwa v34, v12, v76 dst_sel:DWORD dst_unused:UNUSED_PAD src0_sel:WORD_1 src1_sel:DWORD
	s_waitcnt lgkmcnt(1)
	v_lshrrev_b32_e32 v78, 16, v37
	v_fma_f16 v34, v12, v39, v34
	v_mul_f16_sdwa v39, v12, v39 dst_sel:DWORD dst_unused:UNUSED_PAD src0_sel:WORD_1 src1_sel:DWORD
	v_fma_f16 v12, v12, v76, -v39
	v_mul_f16_sdwa v39, v9, v78 dst_sel:DWORD dst_unused:UNUSED_PAD src0_sel:WORD_1 src1_sel:DWORD
	v_lshrrev_b32_e32 v79, 16, v40
	v_fma_f16 v39, v9, v37, v39
	v_mul_f16_sdwa v37, v9, v37 dst_sel:DWORD dst_unused:UNUSED_PAD src0_sel:WORD_1 src1_sel:DWORD
	v_fma_f16 v9, v9, v78, -v37
	v_mul_f16_sdwa v37, v10, v79 dst_sel:DWORD dst_unused:UNUSED_PAD src0_sel:WORD_1 src1_sel:DWORD
	;; [unrolled: 5-line block ×3, first 2 shown]
	s_waitcnt lgkmcnt(0)
	v_lshrrev_b32_e32 v82, 16, v54
	v_fma_f16 v40, v13, v38, v40
	v_mul_f16_sdwa v38, v13, v38 dst_sel:DWORD dst_unused:UNUSED_PAD src0_sel:WORD_1 src1_sel:DWORD
	v_fma_f16 v13, v13, v81, -v38
	v_mul_f16_sdwa v38, v14, v82 dst_sel:DWORD dst_unused:UNUSED_PAD src0_sel:WORD_1 src1_sel:DWORD
	v_fma_f16 v38, v14, v54, v38
	v_mul_f16_sdwa v54, v14, v54 dst_sel:DWORD dst_unused:UNUSED_PAD src0_sel:WORD_1 src1_sel:DWORD
	v_fma_f16 v14, v14, v82, -v54
	v_mul_f16_sdwa v54, v15, v72 dst_sel:DWORD dst_unused:UNUSED_PAD src0_sel:WORD_1 src1_sel:DWORD
	;; [unrolled: 4-line block ×3, first 2 shown]
	v_fma_f16 v69, v16, v70, v69
	v_mul_f16_sdwa v70, v16, v70 dst_sel:DWORD dst_unused:UNUSED_PAD src0_sel:WORD_1 src1_sel:DWORD
	v_fma_f16 v16, v16, v71, -v70
	v_add_f16_e32 v71, v83, v34
	v_lshrrev_b32_e32 v74, 16, v35
	v_add_f16_e32 v70, v35, v83
	v_fma_f16 v35, v71, -0.5, v35
	v_sub_f16_e32 v71, v11, v12
	s_mov_b32 s2, 0xbaee
	s_movk_i32 s3, 0x3aee
	v_fma_f16 v72, v71, s2, v35
	v_fma_f16 v71, v71, s3, v35
	v_add_f16_e32 v35, v74, v11
	v_add_f16_e32 v70, v70, v34
	v_add_f16_e32 v75, v35, v12
	v_add_f16_e32 v11, v11, v12
	v_sub_f16_e32 v12, v83, v34
	v_add_f16_e32 v34, v39, v37
	v_lshrrev_b32_e32 v77, 16, v36
	v_fma_f16 v34, v34, -0.5, v36
	v_sub_f16_e32 v35, v9, v10
	v_fma_f16 v76, v35, s2, v34
	v_fma_f16 v78, v35, s3, v34
	v_add_f16_e32 v34, v77, v9
	v_add_f16_e32 v9, v9, v10
	v_fma_f16 v11, v11, -0.5, v74
	v_add_f16_e32 v79, v34, v10
	v_fma_f16 v9, v9, -0.5, v77
	v_sub_f16_e32 v10, v39, v37
	v_add_f16_e32 v34, v40, v38
	v_lshrrev_b32_e32 v80, 16, v33
	v_fma_f16 v74, v12, s3, v11
	v_fma_f16 v11, v12, s2, v11
	v_add_f16_e32 v12, v36, v39
	v_fma_f16 v39, v10, s3, v9
	v_fma_f16 v9, v10, s2, v9
	v_add_f16_e32 v10, v33, v40
	v_fma_f16 v33, v34, -0.5, v33
	v_sub_f16_e32 v34, v13, v14
	v_fma_f16 v77, v34, s2, v33
	v_fma_f16 v81, v34, s3, v33
	v_add_f16_e32 v33, v80, v13
	v_add_f16_e32 v13, v13, v14
	v_add_f16_e32 v82, v33, v14
	v_fma_f16 v13, v13, -0.5, v80
	v_sub_f16_e32 v14, v40, v38
	v_fma_f16 v40, v14, s3, v13
	v_fma_f16 v13, v14, s2, v13
	v_add_f16_e32 v14, v53, v54
	v_add_f16_e32 v33, v14, v69
	;; [unrolled: 7-line block ×3, first 2 shown]
	v_add_f16_e32 v14, v15, v16
	v_fma_f16 v14, v14, -0.5, v73
	v_sub_f16_e32 v15, v54, v69
	v_add_f16_e32 v12, v12, v37
	v_add_f16_e32 v10, v10, v38
	v_fma_f16 v38, v15, s3, v14
	v_fma_f16 v37, v15, s2, v14
	v_pack_b32_f16 v14, v70, v75
	v_pack_b32_f16 v15, v72, v74
	;; [unrolled: 1-line block ×4, first 2 shown]
	s_barrier
	ds_write2_b32 v57, v14, v15 offset1:10
	ds_write_b32 v57, v11 offset:80
	v_pack_b32_f16 v11, v12, v79
	v_pack_b32_f16 v12, v76, v39
	ds_write_b32 v58, v9 offset:80
	v_pack_b32_f16 v9, v10, v82
	v_pack_b32_f16 v10, v77, v40
	ds_write2_b32 v58, v11, v12 offset1:10
	ds_write2_b32 v60, v9, v10 offset1:10
	v_pack_b32_f16 v9, v81, v13
	ds_write_b32 v60, v9 offset:80
	s_and_saveexec_b64 s[2:3], s[0:1]
	s_cbranch_execz .LBB0_21
; %bb.20:
	s_mov_b32 s6, 0x5040100
	v_lshlrev_b32_e32 v9, 2, v59
	v_perm_b32 v10, v34, v33, s6
	v_perm_b32 v11, v38, v35, s6
	ds_write2_b32 v9, v10, v11 offset1:10
	v_perm_b32 v10, v37, v36, s6
	ds_write_b32 v9, v10 offset:80
.LBB0_21:
	s_or_b64 exec, exec, s[2:3]
	v_add_u32_e32 v13, 0x1000, v42
	s_waitcnt lgkmcnt(0)
	s_barrier
	v_add_u32_e32 v9, 0x500, v42
	ds_read2_b32 v[15:16], v13 offset0:56 offset1:218
	v_add_u32_e32 v13, 0xa00, v42
	ds_read2_b32 v[11:12], v42 offset1:162
	ds_read2_b32 v[9:10], v9 offset0:4 offset1:220
	ds_read2_b32 v[13:14], v13 offset0:62 offset1:224
	ds_read_b32 v39, v42 offset:5616
	s_and_saveexec_b64 s[2:3], s[0:1]
	s_cbranch_execz .LBB0_23
; %bb.22:
	ds_read_b32 v33, v42 offset:1944
	ds_read_b32 v35, v42 offset:4104
	;; [unrolled: 1-line block ×3, first 2 shown]
	s_waitcnt lgkmcnt(2)
	v_lshrrev_b32_e32 v34, 16, v33
	s_waitcnt lgkmcnt(1)
	v_lshrrev_b32_e32 v38, 16, v35
	;; [unrolled: 2-line block ×3, first 2 shown]
.LBB0_23:
	s_or_b64 exec, exec, s[2:3]
	s_waitcnt lgkmcnt(2)
	v_lshrrev_b32_e32 v53, 16, v10
	v_mul_f16_sdwa v71, v17, v53 dst_sel:DWORD dst_unused:UNUSED_PAD src0_sel:WORD_1 src1_sel:DWORD
	v_lshrrev_b32_e32 v54, 16, v15
	v_fma_f16 v71, v17, v10, v71
	v_mul_f16_sdwa v10, v17, v10 dst_sel:DWORD dst_unused:UNUSED_PAD src0_sel:WORD_1 src1_sel:DWORD
	v_fma_f16 v10, v17, v53, -v10
	v_mul_f16_sdwa v17, v18, v54 dst_sel:DWORD dst_unused:UNUSED_PAD src0_sel:WORD_1 src1_sel:DWORD
	s_waitcnt lgkmcnt(1)
	v_lshrrev_b32_e32 v58, 16, v13
	v_fma_f16 v17, v18, v15, v17
	v_mul_f16_sdwa v15, v18, v15 dst_sel:DWORD dst_unused:UNUSED_PAD src0_sel:WORD_1 src1_sel:DWORD
	v_fma_f16 v15, v18, v54, -v15
	v_mul_f16_sdwa v18, v19, v58 dst_sel:DWORD dst_unused:UNUSED_PAD src0_sel:WORD_1 src1_sel:DWORD
	v_lshrrev_b32_e32 v59, 16, v16
	v_fma_f16 v18, v19, v13, v18
	v_mul_f16_sdwa v13, v19, v13 dst_sel:DWORD dst_unused:UNUSED_PAD src0_sel:WORD_1 src1_sel:DWORD
	v_fma_f16 v13, v19, v58, -v13
	v_mul_f16_sdwa v19, v20, v59 dst_sel:DWORD dst_unused:UNUSED_PAD src0_sel:WORD_1 src1_sel:DWORD
	;; [unrolled: 5-line block ×3, first 2 shown]
	s_waitcnt lgkmcnt(0)
	v_lshrrev_b32_e32 v70, 16, v39
	v_fma_f16 v20, v21, v14, v20
	v_mul_f16_sdwa v14, v21, v14 dst_sel:DWORD dst_unused:UNUSED_PAD src0_sel:WORD_1 src1_sel:DWORD
	v_fma_f16 v14, v21, v69, -v14
	v_mul_f16_sdwa v21, v22, v70 dst_sel:DWORD dst_unused:UNUSED_PAD src0_sel:WORD_1 src1_sel:DWORD
	v_fma_f16 v21, v22, v39, v21
	v_mul_f16_sdwa v39, v22, v39 dst_sel:DWORD dst_unused:UNUSED_PAD src0_sel:WORD_1 src1_sel:DWORD
	v_fma_f16 v22, v22, v70, -v39
	v_mul_f16_sdwa v39, v23, v38 dst_sel:DWORD dst_unused:UNUSED_PAD src0_sel:WORD_1 src1_sel:DWORD
	;; [unrolled: 4-line block ×3, first 2 shown]
	v_fma_f16 v35, v24, v36, v35
	v_mul_f16_sdwa v36, v24, v36 dst_sel:DWORD dst_unused:UNUSED_PAD src0_sel:WORD_1 src1_sel:DWORD
	v_fma_f16 v24, v24, v37, -v36
	v_add_f16_e32 v37, v71, v17
	v_lshrrev_b32_e32 v40, 16, v11
	v_add_f16_e32 v36, v11, v71
	v_fma_f16 v11, v37, -0.5, v11
	v_sub_f16_e32 v37, v10, v15
	s_mov_b32 s2, 0xbaee
	s_movk_i32 s3, 0x3aee
	v_fma_f16 v38, v37, s2, v11
	v_fma_f16 v37, v37, s3, v11
	v_add_f16_e32 v11, v40, v10
	v_add_f16_e32 v10, v10, v15
	;; [unrolled: 1-line block ×3, first 2 shown]
	v_fma_f16 v10, v10, -0.5, v40
	v_sub_f16_e32 v11, v71, v17
	v_fma_f16 v40, v11, s3, v10
	v_fma_f16 v54, v11, s2, v10
	v_add_f16_e32 v10, v12, v18
	v_add_f16_e32 v58, v10, v19
	;; [unrolled: 1-line block ×3, first 2 shown]
	v_lshrrev_b32_e32 v57, 16, v12
	v_fma_f16 v10, v10, -0.5, v12
	v_sub_f16_e32 v11, v13, v16
	v_fma_f16 v59, v11, s2, v10
	v_fma_f16 v69, v11, s3, v10
	v_add_f16_e32 v10, v57, v13
	v_add_f16_e32 v70, v10, v16
	v_add_f16_e32 v10, v13, v16
	v_fma_f16 v10, v10, -0.5, v57
	v_sub_f16_e32 v11, v18, v19
	v_fma_f16 v57, v11, s3, v10
	v_fma_f16 v71, v11, s2, v10
	v_add_f16_e32 v11, v20, v21
	v_lshrrev_b32_e32 v60, 16, v9
	v_add_f16_e32 v10, v9, v20
	v_fma_f16 v9, v11, -0.5, v9
	v_sub_f16_e32 v12, v14, v22
	v_add_f16_e32 v19, v23, v24
	v_add_f16_e32 v36, v36, v17
	;; [unrolled: 1-line block ×3, first 2 shown]
	v_fma_f16 v11, v12, s2, v9
	v_fma_f16 v12, v12, s3, v9
	v_add_f16_e32 v9, v60, v14
	v_add_f16_e32 v13, v14, v22
	v_sub_f16_e32 v14, v20, v21
	v_fma_f16 v19, v19, -0.5, v34
	v_sub_f16_e32 v21, v39, v35
	v_add_f16_e32 v9, v9, v22
	v_fma_f16 v20, v21, s3, v19
	v_fma_f16 v19, v21, s2, v19
	v_pack_b32_f16 v21, v36, v53
	v_pack_b32_f16 v22, v38, v40
	v_fma_f16 v13, v13, -0.5, v60
	s_barrier
	ds_write2_b32 v63, v21, v22 offset1:30
	v_pack_b32_f16 v21, v37, v54
	v_fma_f16 v17, v14, s3, v13
	v_fma_f16 v16, v14, s2, v13
	v_add_f16_e32 v14, v39, v35
	ds_write_b32 v63, v21 offset:240
	v_pack_b32_f16 v21, v58, v70
	v_pack_b32_f16 v22, v59, v57
	v_fma_f16 v15, v14, -0.5, v33
	v_sub_f16_e32 v18, v23, v24
	ds_write2_b32 v64, v21, v22 offset1:30
	v_pack_b32_f16 v21, v69, v71
	v_add_f16_e32 v13, v33, v39
	v_fma_f16 v14, v18, s2, v15
	v_fma_f16 v15, v18, s3, v15
	v_add_f16_e32 v18, v34, v23
	ds_write_b32 v64, v21 offset:240
	v_pack_b32_f16 v21, v10, v9
	v_pack_b32_f16 v22, v11, v17
	v_add_f16_e32 v13, v13, v35
	v_add_f16_e32 v18, v18, v24
	ds_write2_b32 v65, v21, v22 offset1:30
	v_pack_b32_f16 v21, v12, v16
	ds_write_b32 v65, v21 offset:240
	s_and_saveexec_b64 s[2:3], s[0:1]
	s_cbranch_execz .LBB0_25
; %bb.24:
	s_movk_i32 s6, 0x5a
	v_mad_legacy_u16 v21, v55, s6, v56
	s_mov_b32 s6, 0x5040100
	v_lshlrev_b32_e32 v21, 2, v21
	v_perm_b32 v22, v18, v13, s6
	v_perm_b32 v23, v20, v14, s6
	ds_write2_b32 v21, v22, v23 offset1:30
	v_perm_b32 v22, v19, v15, s6
	ds_write_b32 v21, v22 offset:240
.LBB0_25:
	s_or_b64 exec, exec, s[2:3]
	s_waitcnt lgkmcnt(0)
	s_barrier
	ds_read_b32 v21, v42
	ds_read_b32 v34, v42 offset:1080
	ds_read_b32 v33, v42 offset:2160
	;; [unrolled: 1-line block ×5, first 2 shown]
	s_and_saveexec_b64 s[2:3], s[4:5]
	s_cbranch_execz .LBB0_27
; %bb.26:
	ds_read_b32 v10, v42 offset:648
	ds_read_b32 v11, v42 offset:1728
	;; [unrolled: 1-line block ×6, first 2 shown]
	s_waitcnt lgkmcnt(5)
	v_lshrrev_b32_e32 v9, 16, v10
	s_waitcnt lgkmcnt(4)
	v_lshrrev_b32_e32 v17, 16, v11
	;; [unrolled: 2-line block ×6, first 2 shown]
.LBB0_27:
	s_or_b64 exec, exec, s[2:3]
	s_waitcnt lgkmcnt(4)
	v_lshrrev_b32_e32 v36, 16, v34
	v_mul_f16_sdwa v53, v0, v36 dst_sel:DWORD dst_unused:UNUSED_PAD src0_sel:WORD_1 src1_sel:DWORD
	v_fma_f16 v53, v0, v34, v53
	v_mul_f16_sdwa v34, v0, v34 dst_sel:DWORD dst_unused:UNUSED_PAD src0_sel:WORD_1 src1_sel:DWORD
	v_fma_f16 v0, v0, v36, -v34
	v_mul_f16_sdwa v36, v4, v17 dst_sel:DWORD dst_unused:UNUSED_PAD src0_sel:WORD_1 src1_sel:DWORD
	s_waitcnt lgkmcnt(3)
	v_lshrrev_b32_e32 v37, 16, v33
	v_fma_f16 v36, v4, v11, v36
	v_mul_f16_sdwa v11, v4, v11 dst_sel:DWORD dst_unused:UNUSED_PAD src0_sel:WORD_1 src1_sel:DWORD
	v_mul_f16_sdwa v34, v1, v37 dst_sel:DWORD dst_unused:UNUSED_PAD src0_sel:WORD_1 src1_sel:DWORD
	v_fma_f16 v11, v4, v17, -v11
	v_mul_f16_sdwa v4, v5, v16 dst_sel:DWORD dst_unused:UNUSED_PAD src0_sel:WORD_1 src1_sel:DWORD
	s_waitcnt lgkmcnt(2)
	v_lshrrev_b32_e32 v38, 16, v24
	v_fma_f16 v34, v1, v33, v34
	v_mul_f16_sdwa v33, v1, v33 dst_sel:DWORD dst_unused:UNUSED_PAD src0_sel:WORD_1 src1_sel:DWORD
	v_fma_f16 v4, v5, v12, v4
	v_mul_f16_sdwa v12, v5, v12 dst_sel:DWORD dst_unused:UNUSED_PAD src0_sel:WORD_1 src1_sel:DWORD
	v_fma_f16 v1, v1, v37, -v33
	v_mul_f16_sdwa v33, v2, v38 dst_sel:DWORD dst_unused:UNUSED_PAD src0_sel:WORD_1 src1_sel:DWORD
	v_fma_f16 v5, v5, v16, -v12
	v_mul_f16_sdwa v12, v6, v18 dst_sel:DWORD dst_unused:UNUSED_PAD src0_sel:WORD_1 src1_sel:DWORD
	s_waitcnt lgkmcnt(1)
	v_lshrrev_b32_e32 v39, 16, v23
	v_fma_f16 v33, v2, v24, v33
	v_mul_f16_sdwa v24, v2, v24 dst_sel:DWORD dst_unused:UNUSED_PAD src0_sel:WORD_1 src1_sel:DWORD
	v_fma_f16 v12, v6, v13, v12
	v_mul_f16_sdwa v13, v6, v13 dst_sel:DWORD dst_unused:UNUSED_PAD src0_sel:WORD_1 src1_sel:DWORD
	v_fma_f16 v2, v2, v38, -v24
	;; [unrolled: 10-line block ×3, first 2 shown]
	v_mul_f16_sdwa v23, v66, v40 dst_sel:DWORD dst_unused:UNUSED_PAD src0_sel:WORD_1 src1_sel:DWORD
	v_fma_f16 v7, v7, v20, -v14
	v_mul_f16_sdwa v14, v67, v19 dst_sel:DWORD dst_unused:UNUSED_PAD src0_sel:WORD_1 src1_sel:DWORD
	v_add_f16_e32 v17, v34, v24
	v_lshrrev_b32_e32 v35, 16, v21
	v_fma_f16 v23, v66, v22, v23
	v_mul_f16_sdwa v22, v66, v22 dst_sel:DWORD dst_unused:UNUSED_PAD src0_sel:WORD_1 src1_sel:DWORD
	v_fma_f16 v14, v67, v15, v14
	v_mul_f16_sdwa v15, v67, v15 dst_sel:DWORD dst_unused:UNUSED_PAD src0_sel:WORD_1 src1_sel:DWORD
	v_fma_f16 v17, v17, -0.5, v21
	v_sub_f16_e32 v18, v1, v3
	s_mov_b32 s2, 0xbaee
	s_movk_i32 s3, 0x3aee
	v_fma_f16 v22, v66, v40, -v22
	v_fma_f16 v15, v67, v19, -v15
	v_add_f16_e32 v16, v21, v34
	v_fma_f16 v19, v18, s2, v17
	v_fma_f16 v17, v18, s3, v17
	v_add_f16_e32 v18, v35, v1
	v_add_f16_e32 v21, v33, v23
	;; [unrolled: 1-line block ×5, first 2 shown]
	v_sub_f16_e32 v3, v34, v24
	v_fma_f16 v21, v21, -0.5, v53
	v_sub_f16_e32 v24, v2, v22
	v_fma_f16 v34, v24, s2, v21
	v_fma_f16 v21, v24, s3, v21
	v_add_f16_e32 v24, v0, v2
	v_add_f16_e32 v2, v2, v22
	v_fma_f16 v0, v2, -0.5, v0
	v_sub_f16_e32 v2, v33, v23
	v_add_f16_e32 v24, v24, v22
	v_fma_f16 v22, v2, s3, v0
	v_fma_f16 v0, v2, s2, v0
	v_fma_f16 v1, v1, -0.5, v35
	v_mul_f16_e32 v2, 0xbaee, v22
	v_mul_f16_e32 v35, 0xbaee, v0
	v_mul_f16_e32 v22, 0.5, v22
	v_mul_f16_e32 v0, -0.5, v0
	v_fma_f16 v20, v3, s3, v1
	v_fma_f16 v1, v3, s2, v1
	v_add_f16_e32 v3, v53, v33
	v_fma_f16 v22, v34, s3, v22
	v_fma_f16 v0, v21, s3, v0
	v_add_f16_e32 v3, v3, v23
	v_fma_f16 v2, v34, 0.5, v2
	v_fma_f16 v35, v21, -0.5, v35
	v_add_f16_e32 v34, v20, v22
	v_add_f16_e32 v21, v1, v0
	v_sub_f16_e32 v20, v20, v22
	v_sub_f16_e32 v22, v1, v0
	v_add_f16_e32 v1, v4, v6
	v_add_f16_e32 v23, v16, v3
	;; [unrolled: 1-line block ×3, first 2 shown]
	v_sub_f16_e32 v39, v16, v3
	v_sub_f16_e32 v19, v19, v2
	v_fma_f16 v2, v1, -0.5, v10
	v_sub_f16_e32 v3, v5, v7
	v_fma_f16 v1, v3, s2, v2
	v_fma_f16 v2, v3, s3, v2
	v_add_f16_e32 v3, v9, v5
	v_add_f16_e32 v5, v5, v7
	v_add_f16_e32 v0, v10, v4
	v_add_f16_e32 v3, v3, v7
	v_fma_f16 v7, v5, -0.5, v9
	v_sub_f16_e32 v4, v4, v6
	v_add_f16_e32 v0, v0, v6
	v_fma_f16 v5, v4, s3, v7
	v_fma_f16 v6, v4, s2, v7
	v_add_f16_e32 v7, v12, v14
	v_fma_f16 v7, v7, -0.5, v36
	v_sub_f16_e32 v9, v13, v15
	v_fma_f16 v10, v9, s2, v7
	v_fma_f16 v9, v9, s3, v7
	v_add_f16_e32 v7, v11, v13
	v_add_f16_e32 v13, v13, v15
	;; [unrolled: 1-line block ×3, first 2 shown]
	v_fma_f16 v11, v13, -0.5, v11
	v_sub_f16_e32 v12, v12, v14
	v_fma_f16 v13, v12, s3, v11
	v_fma_f16 v11, v12, s2, v11
	v_mul_f16_e32 v12, 0xbaee, v13
	v_add_f16_e32 v7, v7, v15
	v_fma_f16 v15, v10, 0.5, v12
	v_mul_f16_e32 v12, 0xbaee, v11
	v_add_f16_e32 v38, v18, v24
	v_fma_f16 v16, v9, -0.5, v12
	v_mul_f16_e32 v12, 0.5, v13
	v_add_f16_e32 v37, v17, v35
	v_sub_f16_e32 v35, v17, v35
	v_sub_f16_e32 v24, v18, v24
	v_fma_f16 v17, v10, s3, v12
	v_mul_f16_e32 v10, -0.5, v11
	v_pack_b32_f16 v23, v23, v38
	v_pack_b32_f16 v33, v33, v34
	v_add_f16_e32 v4, v4, v14
	v_fma_f16 v18, v9, s3, v10
	s_barrier
	ds_write2_b32 v68, v23, v33 offset1:90
	v_pack_b32_f16 v21, v37, v21
	v_pack_b32_f16 v23, v39, v24
	v_add_u32_e32 v24, 0x200, v68
	v_sub_f16_e32 v9, v0, v4
	v_sub_f16_e32 v10, v1, v15
	;; [unrolled: 1-line block ×6, first 2 shown]
	ds_write2_b32 v24, v21, v23 offset0:52 offset1:142
	v_pack_b32_f16 v19, v19, v20
	v_pack_b32_f16 v20, v35, v22
	v_add_u32_e32 v21, 0x400, v68
	ds_write2_b32 v21, v19, v20 offset0:104 offset1:194
	s_and_saveexec_b64 s[2:3], s[4:5]
	s_cbranch_execz .LBB0_29
; %bb.28:
	s_movk_i32 s4, 0x21c
	v_add_f16_e32 v5, v5, v17
	v_add_f16_e32 v3, v3, v7
	;; [unrolled: 1-line block ×4, first 2 shown]
	v_mad_legacy_u16 v4, v61, s4, v62
	v_add_f16_e32 v6, v6, v18
	v_add_f16_e32 v2, v2, v16
	v_lshlrev_b32_e32 v4, 2, v4
	v_pack_b32_f16 v0, v0, v3
	v_pack_b32_f16 v1, v1, v5
	s_mov_b32 s4, 0x5040100
	ds_write2_b32 v4, v0, v1 offset1:90
	v_pack_b32_f16 v0, v2, v6
	v_perm_b32 v1, v11, v9, s4
	v_add_u32_e32 v2, 0x200, v4
	ds_write2_b32 v2, v0, v1 offset0:52 offset1:142
	v_perm_b32 v0, v13, v10, s4
	v_perm_b32 v1, v14, v12, s4
	v_add_u32_e32 v2, 0x400, v4
	ds_write2_b32 v2, v0, v1 offset0:104 offset1:194
.LBB0_29:
	s_or_b64 exec, exec, s[2:3]
	v_add_u32_e32 v0, 0x500, v42
	v_add_u32_e32 v4, 0x1000, v42
	v_add_u32_e32 v15, 0xa00, v42
	s_waitcnt lgkmcnt(0)
	s_barrier
	ds_read2_b32 v[2:3], v42 offset1:162
	ds_read2_b32 v[0:1], v0 offset0:4 offset1:220
	ds_read2_b32 v[6:7], v4 offset0:56 offset1:218
	;; [unrolled: 1-line block ×3, first 2 shown]
	ds_read_b32 v16, v42 offset:5616
	s_and_saveexec_b64 s[2:3], s[0:1]
	s_cbranch_execz .LBB0_31
; %bb.30:
	ds_read_b32 v9, v42 offset:1944
	ds_read_b32 v10, v42 offset:4104
	;; [unrolled: 1-line block ×3, first 2 shown]
	s_waitcnt lgkmcnt(2)
	v_lshrrev_b32_e32 v11, 16, v9
	s_waitcnt lgkmcnt(1)
	v_lshrrev_b32_e32 v13, 16, v10
	;; [unrolled: 2-line block ×3, first 2 shown]
.LBB0_31:
	s_or_b64 exec, exec, s[2:3]
	s_waitcnt lgkmcnt(3)
	v_lshrrev_b32_e32 v18, 16, v1
	v_mul_f16_sdwa v34, v27, v18 dst_sel:DWORD dst_unused:UNUSED_PAD src0_sel:WORD_1 src1_sel:DWORD
	s_waitcnt lgkmcnt(2)
	v_lshrrev_b32_e32 v19, 16, v6
	v_fma_f16 v34, v27, v1, v34
	v_mul_f16_sdwa v1, v27, v1 dst_sel:DWORD dst_unused:UNUSED_PAD src0_sel:WORD_1 src1_sel:DWORD
	v_fma_f16 v1, v27, v18, -v1
	v_mul_f16_sdwa v18, v28, v19 dst_sel:DWORD dst_unused:UNUSED_PAD src0_sel:WORD_1 src1_sel:DWORD
	s_waitcnt lgkmcnt(1)
	v_lshrrev_b32_e32 v21, 16, v4
	v_fma_f16 v18, v28, v6, v18
	v_mul_f16_sdwa v6, v28, v6 dst_sel:DWORD dst_unused:UNUSED_PAD src0_sel:WORD_1 src1_sel:DWORD
	v_fma_f16 v6, v28, v19, -v6
	v_mul_f16_sdwa v19, v29, v21 dst_sel:DWORD dst_unused:UNUSED_PAD src0_sel:WORD_1 src1_sel:DWORD
	v_lshrrev_b32_e32 v22, 16, v7
	v_fma_f16 v19, v29, v4, v19
	v_mul_f16_sdwa v4, v29, v4 dst_sel:DWORD dst_unused:UNUSED_PAD src0_sel:WORD_1 src1_sel:DWORD
	v_fma_f16 v4, v29, v21, -v4
	v_mul_f16_sdwa v21, v30, v22 dst_sel:DWORD dst_unused:UNUSED_PAD src0_sel:WORD_1 src1_sel:DWORD
	v_add_f16_e32 v28, v34, v18
	v_lshrrev_b32_e32 v17, 16, v2
	v_lshrrev_b32_e32 v24, 16, v5
	v_fma_f16 v21, v30, v7, v21
	v_mul_f16_sdwa v7, v30, v7 dst_sel:DWORD dst_unused:UNUSED_PAD src0_sel:WORD_1 src1_sel:DWORD
	v_add_f16_e32 v27, v2, v34
	v_fma_f16 v2, v28, -0.5, v2
	v_sub_f16_e32 v28, v1, v6
	s_mov_b32 s4, 0xbaee
	s_movk_i32 s5, 0x3aee
	v_fma_f16 v7, v30, v22, -v7
	v_mul_f16_sdwa v22, v31, v24 dst_sel:DWORD dst_unused:UNUSED_PAD src0_sel:WORD_1 src1_sel:DWORD
	v_fma_f16 v29, v28, s4, v2
	v_fma_f16 v2, v28, s5, v2
	v_add_f16_e32 v28, v17, v1
	v_add_f16_e32 v1, v1, v6
	s_waitcnt lgkmcnt(0)
	v_lshrrev_b32_e32 v33, 16, v16
	v_fma_f16 v22, v31, v5, v22
	v_mul_f16_sdwa v5, v31, v5 dst_sel:DWORD dst_unused:UNUSED_PAD src0_sel:WORD_1 src1_sel:DWORD
	v_add_f16_e32 v27, v27, v18
	v_add_f16_e32 v28, v28, v6
	v_fma_f16 v1, v1, -0.5, v17
	v_sub_f16_e32 v6, v34, v18
	v_add_f16_e32 v18, v19, v21
	v_lshrrev_b32_e32 v20, 16, v3
	v_fma_f16 v5, v31, v24, -v5
	v_mul_f16_sdwa v24, v32, v33 dst_sel:DWORD dst_unused:UNUSED_PAD src0_sel:WORD_1 src1_sel:DWORD
	v_fma_f16 v17, v6, s5, v1
	v_fma_f16 v1, v6, s4, v1
	v_add_f16_e32 v6, v3, v19
	v_fma_f16 v3, v18, -0.5, v3
	v_sub_f16_e32 v18, v4, v7
	v_fma_f16 v24, v32, v16, v24
	v_mul_f16_sdwa v16, v32, v16 dst_sel:DWORD dst_unused:UNUSED_PAD src0_sel:WORD_1 src1_sel:DWORD
	v_fma_f16 v30, v18, s4, v3
	v_fma_f16 v3, v18, s5, v3
	v_add_f16_e32 v18, v20, v4
	v_add_f16_e32 v4, v4, v7
	v_fma_f16 v16, v32, v33, -v16
	v_add_f16_e32 v18, v18, v7
	v_fma_f16 v4, v4, -0.5, v20
	v_sub_f16_e32 v7, v19, v21
	v_add_f16_e32 v20, v22, v24
	v_lshrrev_b32_e32 v23, 16, v0
	v_fma_f16 v19, v7, s5, v4
	v_fma_f16 v4, v7, s4, v4
	v_add_f16_e32 v7, v0, v22
	v_fma_f16 v0, v20, -0.5, v0
	v_sub_f16_e32 v20, v5, v16
	v_add_f16_e32 v6, v6, v21
	v_fma_f16 v21, v20, s4, v0
	v_fma_f16 v0, v20, s5, v0
	v_add_f16_e32 v20, v23, v5
	v_add_f16_e32 v5, v5, v16
	;; [unrolled: 1-line block ×3, first 2 shown]
	v_fma_f16 v5, v5, -0.5, v23
	v_sub_f16_e32 v16, v22, v24
	v_pack_b32_f16 v1, v2, v1
	v_add_f16_e32 v7, v7, v24
	v_fma_f16 v22, v16, s5, v5
	v_fma_f16 v5, v16, s4, v5
	v_pack_b32_f16 v16, v27, v28
	v_pack_b32_f16 v17, v29, v17
	ds_write_b32 v42, v1 offset:4320
	v_pack_b32_f16 v1, v6, v18
	v_pack_b32_f16 v2, v3, v4
	ds_write_b32 v42, v17 offset:2160
	ds_write2_b32 v42, v16, v1 offset1:162
	ds_write_b32 v42, v2 offset:4968
	v_pack_b32_f16 v2, v7, v20
	v_pack_b32_f16 v1, v30, v19
	ds_write_b32 v42, v2 offset:1296
	v_pack_b32_f16 v2, v21, v22
	v_pack_b32_f16 v0, v0, v5
	ds_write2_b32 v15, v1, v2 offset0:62 offset1:224
	ds_write_b32 v42, v0 offset:5616
	s_and_saveexec_b64 s[2:3], s[0:1]
	s_cbranch_execz .LBB0_33
; %bb.32:
	v_mul_f16_sdwa v0, v25, v10 dst_sel:DWORD dst_unused:UNUSED_PAD src0_sel:WORD_1 src1_sel:DWORD
	v_mul_f16_sdwa v1, v26, v12 dst_sel:DWORD dst_unused:UNUSED_PAD src0_sel:WORD_1 src1_sel:DWORD
	v_fma_f16 v0, v25, v13, -v0
	v_fma_f16 v1, v26, v14, -v1
	v_mul_f16_sdwa v3, v25, v13 dst_sel:DWORD dst_unused:UNUSED_PAD src0_sel:WORD_1 src1_sel:DWORD
	v_mul_f16_sdwa v4, v26, v14 dst_sel:DWORD dst_unused:UNUSED_PAD src0_sel:WORD_1 src1_sel:DWORD
	v_add_f16_e32 v2, v0, v1
	v_fma_f16 v3, v25, v10, v3
	v_fma_f16 v4, v26, v12, v4
	v_fma_f16 v2, v2, -0.5, v11
	v_sub_f16_e32 v5, v3, v4
	v_add_f16_e32 v7, v3, v4
	v_fma_f16 v6, v5, s4, v2
	v_fma_f16 v2, v5, s5, v2
	v_add_f16_e32 v5, v11, v0
	v_fma_f16 v7, v7, -0.5, v9
	v_sub_f16_e32 v0, v0, v1
	v_add_f16_e32 v5, v5, v1
	v_fma_f16 v1, v0, s5, v7
	v_fma_f16 v0, v0, s4, v7
	v_add_f16_e32 v3, v9, v3
	v_add_f16_e32 v3, v3, v4
	v_pack_b32_f16 v0, v0, v2
	v_pack_b32_f16 v3, v3, v5
	ds_write_b32 v42, v0 offset:4104
	v_pack_b32_f16 v0, v1, v6
	ds_write_b32 v42, v3 offset:1944
	ds_write_b32 v42, v0 offset:6264
.LBB0_33:
	s_or_b64 exec, exec, s[2:3]
	s_waitcnt lgkmcnt(0)
	s_barrier
	ds_read2_b32 v[0:1], v42 offset1:162
	s_mov_b32 s2, 0x30abee4d
	s_mov_b32 s3, 0x3f443a27
	v_mad_u64_u32 v[4:5], s[0:1], s10, v8, 0
	s_waitcnt lgkmcnt(0)
	v_lshrrev_b32_e32 v7, 16, v0
	v_mul_f16_sdwa v2, v52, v7 dst_sel:DWORD dst_unused:UNUSED_PAD src0_sel:WORD_1 src1_sel:DWORD
	v_fma_f16 v2, v52, v0, v2
	v_cvt_f32_f16_e32 v2, v2
	s_movk_i32 s4, 0x1ff
	v_mad_u64_u32 v[5:6], s[0:1], s11, v8, v[5:6]
	v_cvt_f64_f32_e32 v[2:3], v2
	s_movk_i32 s5, 0xffe
	v_mul_f16_sdwa v0, v52, v0 dst_sel:DWORD dst_unused:UNUSED_PAD src0_sel:WORD_1 src1_sel:DWORD
	v_fma_f16 v0, v52, v7, -v0
	v_mul_f64 v[2:3], v[2:3], s[2:3]
	v_cvt_f32_f16_e32 v7, v0
	v_mov_b32_e32 v0, 0x7c00
	s_movk_i32 s6, 0x40f
	s_mov_b32 s7, 0x8000
	v_lshrrev_b32_e32 v11, 16, v1
	v_and_or_b32 v2, v3, s4, v2
	v_cmp_ne_u32_e32 vcc, 0, v2
	v_lshrrev_b32_e32 v6, 8, v3
	v_bfe_u32 v8, v3, 20, 11
	v_cndmask_b32_e64 v2, 0, 1, vcc
	v_sub_u32_e32 v9, 0x3f1, v8
	v_and_or_b32 v2, v6, s5, v2
	v_or_b32_e32 v6, 0x1000, v2
	v_med3_i32 v9, v9, 0, 13
	v_lshrrev_b32_e32 v10, v9, v6
	v_lshlrev_b32_e32 v9, v9, v10
	v_cmp_ne_u32_e32 vcc, v9, v6
	v_cndmask_b32_e64 v6, 0, 1, vcc
	v_add_u32_e32 v8, 0xfffffc10, v8
	v_or_b32_e32 v6, v10, v6
	v_lshl_or_b32 v9, v8, 12, v2
	v_cmp_gt_i32_e32 vcc, 1, v8
	v_cndmask_b32_e32 v6, v9, v6, vcc
	v_and_b32_e32 v9, 7, v6
	v_cmp_lt_i32_e32 vcc, 5, v9
	v_cmp_eq_u32_e64 s[0:1], 3, v9
	v_lshrrev_b32_e32 v6, 2, v6
	s_or_b64 vcc, s[0:1], vcc
	v_addc_co_u32_e32 v9, vcc, 0, v6, vcc
	v_cvt_f64_f32_e32 v[6:7], v7
	v_cmp_gt_i32_e32 vcc, 31, v8
	v_cndmask_b32_e32 v9, v0, v9, vcc
	v_cmp_ne_u32_e32 vcc, 0, v2
	v_mul_f64 v[6:7], v[6:7], s[2:3]
	v_cndmask_b32_e64 v2, 0, 1, vcc
	v_lshl_or_b32 v2, v2, 9, v0
	v_cmp_eq_u32_e32 vcc, s6, v8
	v_cndmask_b32_e32 v2, v9, v2, vcc
	v_lshrrev_b32_e32 v3, 16, v3
	v_and_or_b32 v8, v3, s7, v2
	v_and_b32_e32 v8, 0xffff, v8
	v_and_or_b32 v2, v7, s4, v6
	v_cmp_ne_u32_e32 vcc, 0, v2
	v_cndmask_b32_e64 v2, 0, 1, vcc
	v_lshrrev_b32_e32 v3, 8, v7
	v_bfe_u32 v6, v7, 20, 11
	v_and_or_b32 v2, v3, s5, v2
	v_sub_u32_e32 v9, 0x3f1, v6
	v_or_b32_e32 v3, 0x1000, v2
	v_med3_i32 v9, v9, 0, 13
	v_lshrrev_b32_e32 v10, v9, v3
	v_lshlrev_b32_e32 v9, v9, v10
	v_cmp_ne_u32_e32 vcc, v9, v3
	v_cndmask_b32_e64 v3, 0, 1, vcc
	v_add_u32_e32 v6, 0xfffffc10, v6
	v_or_b32_e32 v3, v10, v3
	v_lshl_or_b32 v9, v6, 12, v2
	v_cmp_gt_i32_e32 vcc, 1, v6
	v_cndmask_b32_e32 v3, v9, v3, vcc
	v_and_b32_e32 v9, 7, v3
	v_cmp_lt_i32_e32 vcc, 5, v9
	v_cmp_eq_u32_e64 s[0:1], 3, v9
	v_lshrrev_b32_e32 v3, 2, v3
	s_or_b64 vcc, s[0:1], vcc
	v_addc_co_u32_e32 v3, vcc, 0, v3, vcc
	v_cmp_gt_i32_e32 vcc, 31, v6
	v_cndmask_b32_e32 v9, v0, v3, vcc
	v_cmp_ne_u32_e32 vcc, 0, v2
	v_cndmask_b32_e64 v2, 0, 1, vcc
	v_lshl_or_b32 v10, v2, 9, v0
	v_mad_u64_u32 v[2:3], s[0:1], s8, v51, 0
	v_cmp_eq_u32_e32 vcc, s6, v6
	v_cndmask_b32_e32 v9, v9, v10, vcc
	v_lshrrev_b32_e32 v10, 16, v7
	v_mad_u64_u32 v[6:7], s[0:1], s9, v51, v[3:4]
	v_mul_f16_sdwa v3, v50, v11 dst_sel:DWORD dst_unused:UNUSED_PAD src0_sel:WORD_1 src1_sel:DWORD
	v_fma_f16 v3, v50, v1, v3
	v_cvt_f32_f16_e32 v7, v3
	v_mov_b32_e32 v3, v6
	v_lshlrev_b64 v[4:5], 2, v[4:5]
	v_and_or_b32 v9, v10, s7, v9
	v_cvt_f64_f32_e32 v[6:7], v7
	v_lshl_or_b32 v8, v9, 16, v8
	v_mov_b32_e32 v9, s17
	v_add_co_u32_e32 v4, vcc, s16, v4
	v_mul_f64 v[6:7], v[6:7], s[2:3]
	v_lshlrev_b64 v[2:3], 2, v[2:3]
	v_addc_co_u32_e32 v5, vcc, v9, v5, vcc
	v_add_co_u32_e32 v2, vcc, v4, v2
	v_addc_co_u32_e32 v3, vcc, v5, v3, vcc
	v_and_or_b32 v4, v7, s4, v6
	v_cmp_ne_u32_e32 vcc, 0, v4
	v_cndmask_b32_e64 v4, 0, 1, vcc
	v_lshrrev_b32_e32 v5, 8, v7
	v_and_or_b32 v6, v5, s5, v4
	v_bfe_u32 v5, v7, 20, 11
	global_store_dword v[2:3], v8, off
	v_sub_u32_e32 v8, 0x3f1, v5
	v_or_b32_e32 v4, 0x1000, v6
	v_med3_i32 v8, v8, 0, 13
	v_lshrrev_b32_e32 v9, v8, v4
	v_lshlrev_b32_e32 v8, v8, v9
	v_mul_f16_sdwa v1, v50, v1 dst_sel:DWORD dst_unused:UNUSED_PAD src0_sel:WORD_1 src1_sel:DWORD
	v_cmp_ne_u32_e32 vcc, v8, v4
	v_fma_f16 v1, v50, v11, -v1
	v_cndmask_b32_e64 v4, 0, 1, vcc
	v_add_u32_e32 v8, 0xfffffc10, v5
	v_cvt_f32_f16_e32 v1, v1
	v_or_b32_e32 v4, v9, v4
	v_lshl_or_b32 v5, v8, 12, v6
	v_cmp_gt_i32_e32 vcc, 1, v8
	v_cndmask_b32_e32 v4, v5, v4, vcc
	v_and_b32_e32 v5, 7, v4
	v_cmp_lt_i32_e32 vcc, 5, v5
	v_cmp_eq_u32_e64 s[0:1], 3, v5
	v_lshrrev_b32_e32 v9, 2, v4
	v_cvt_f64_f32_e32 v[4:5], v1
	s_or_b64 vcc, s[0:1], vcc
	v_addc_co_u32_e32 v1, vcc, 0, v9, vcc
	v_mul_f64 v[4:5], v[4:5], s[2:3]
	v_cmp_gt_i32_e32 vcc, 31, v8
	v_cndmask_b32_e32 v1, v0, v1, vcc
	v_cmp_ne_u32_e32 vcc, 0, v6
	v_cndmask_b32_e64 v6, 0, 1, vcc
	v_lshl_or_b32 v6, v6, 9, v0
	v_cmp_eq_u32_e32 vcc, s6, v8
	v_cndmask_b32_e32 v1, v1, v6, vcc
	v_and_or_b32 v4, v5, s4, v4
	v_lshrrev_b32_e32 v6, 16, v7
	v_cmp_ne_u32_e32 vcc, 0, v4
	v_and_or_b32 v1, v6, s7, v1
	v_cndmask_b32_e64 v4, 0, 1, vcc
	v_lshrrev_b32_e32 v6, 8, v5
	v_bfe_u32 v7, v5, 20, 11
	v_and_or_b32 v4, v6, s5, v4
	v_sub_u32_e32 v8, 0x3f1, v7
	v_or_b32_e32 v6, 0x1000, v4
	v_med3_i32 v8, v8, 0, 13
	v_lshrrev_b32_e32 v9, v8, v6
	v_lshlrev_b32_e32 v8, v8, v9
	v_cmp_ne_u32_e32 vcc, v8, v6
	v_cndmask_b32_e64 v6, 0, 1, vcc
	v_add_u32_e32 v8, 0xfffffc10, v7
	v_or_b32_e32 v6, v9, v6
	v_lshl_or_b32 v7, v8, 12, v4
	v_cmp_gt_i32_e32 vcc, 1, v8
	v_cndmask_b32_e32 v6, v7, v6, vcc
	v_and_b32_e32 v7, 7, v6
	v_cmp_lt_i32_e32 vcc, 5, v7
	v_cmp_eq_u32_e64 s[0:1], 3, v7
	v_lshrrev_b32_e32 v6, 2, v6
	s_or_b64 vcc, s[0:1], vcc
	v_addc_co_u32_e32 v6, vcc, 0, v6, vcc
	v_cmp_gt_i32_e32 vcc, 31, v8
	v_cndmask_b32_e32 v9, v0, v6, vcc
	v_add_u32_e32 v6, 0x400, v42
	ds_read2_b32 v[6:7], v6 offset0:68 offset1:230
	v_cmp_ne_u32_e32 vcc, 0, v4
	v_cndmask_b32_e64 v4, 0, 1, vcc
	v_lshl_or_b32 v4, v4, 9, v0
	v_cmp_eq_u32_e32 vcc, s6, v8
	s_waitcnt lgkmcnt(0)
	v_lshrrev_b32_e32 v8, 16, v6
	v_cndmask_b32_e32 v4, v9, v4, vcc
	v_mul_f16_sdwa v9, v49, v8 dst_sel:DWORD dst_unused:UNUSED_PAD src0_sel:WORD_1 src1_sel:DWORD
	v_fma_f16 v9, v49, v6, v9
	v_cvt_f32_f16_e32 v9, v9
	v_lshrrev_b32_e32 v5, 16, v5
	v_and_or_b32 v4, v5, s7, v4
	v_and_b32_e32 v1, 0xffff, v1
	v_lshl_or_b32 v10, v4, 16, v1
	v_cvt_f64_f32_e32 v[4:5], v9
	s_mul_i32 s0, s9, 0x288
	s_mul_hi_u32 s9, s8, 0x288
	s_add_i32 s9, s9, s0
	v_mul_f64 v[4:5], v[4:5], s[2:3]
	s_mulk_i32 s8, 0x288
	v_mov_b32_e32 v9, s9
	v_add_co_u32_e32 v1, vcc, s8, v2
	v_addc_co_u32_e32 v2, vcc, v3, v9, vcc
	global_store_dword v[1:2], v10, off
	v_and_or_b32 v3, v5, s4, v4
	v_cmp_ne_u32_e32 vcc, 0, v3
	v_cndmask_b32_e64 v3, 0, 1, vcc
	v_lshrrev_b32_e32 v4, 8, v5
	v_and_or_b32 v9, v4, s5, v3
	v_bfe_u32 v4, v5, 20, 11
	v_sub_u32_e32 v10, 0x3f1, v4
	v_or_b32_e32 v3, 0x1000, v9
	v_med3_i32 v10, v10, 0, 13
	v_lshrrev_b32_e32 v11, v10, v3
	v_lshlrev_b32_e32 v10, v10, v11
	v_mul_f16_sdwa v6, v49, v6 dst_sel:DWORD dst_unused:UNUSED_PAD src0_sel:WORD_1 src1_sel:DWORD
	v_cmp_ne_u32_e32 vcc, v10, v3
	v_fma_f16 v6, v49, v8, -v6
	v_cndmask_b32_e64 v3, 0, 1, vcc
	v_add_u32_e32 v10, 0xfffffc10, v4
	v_cvt_f32_f16_e32 v6, v6
	v_or_b32_e32 v3, v11, v3
	v_lshl_or_b32 v4, v10, 12, v9
	v_cmp_gt_i32_e32 vcc, 1, v10
	v_cndmask_b32_e32 v3, v4, v3, vcc
	v_and_b32_e32 v4, 7, v3
	v_cmp_lt_i32_e32 vcc, 5, v4
	v_cmp_eq_u32_e64 s[0:1], 3, v4
	v_lshrrev_b32_e32 v8, 2, v3
	v_cvt_f64_f32_e32 v[3:4], v6
	s_or_b64 vcc, s[0:1], vcc
	v_addc_co_u32_e32 v6, vcc, 0, v8, vcc
	v_mul_f64 v[3:4], v[3:4], s[2:3]
	v_cmp_gt_i32_e32 vcc, 31, v10
	v_cndmask_b32_e32 v6, v0, v6, vcc
	v_cmp_ne_u32_e32 vcc, 0, v9
	v_cndmask_b32_e64 v8, 0, 1, vcc
	v_lshl_or_b32 v8, v8, 9, v0
	v_cmp_eq_u32_e32 vcc, s6, v10
	v_cndmask_b32_e32 v6, v6, v8, vcc
	v_and_or_b32 v3, v4, s4, v3
	v_lshrrev_b32_e32 v5, 16, v5
	v_cmp_ne_u32_e32 vcc, 0, v3
	v_and_or_b32 v8, v5, s7, v6
	v_cndmask_b32_e64 v3, 0, 1, vcc
	v_lshrrev_b32_e32 v5, 8, v4
	v_bfe_u32 v6, v4, 20, 11
	v_and_or_b32 v3, v5, s5, v3
	v_sub_u32_e32 v9, 0x3f1, v6
	v_or_b32_e32 v5, 0x1000, v3
	v_med3_i32 v9, v9, 0, 13
	v_lshrrev_b32_e32 v10, v9, v5
	v_lshlrev_b32_e32 v9, v9, v10
	v_cmp_ne_u32_e32 vcc, v9, v5
	v_cndmask_b32_e64 v5, 0, 1, vcc
	v_add_u32_e32 v6, 0xfffffc10, v6
	v_or_b32_e32 v5, v10, v5
	v_lshl_or_b32 v9, v6, 12, v3
	v_cmp_gt_i32_e32 vcc, 1, v6
	v_cndmask_b32_e32 v5, v9, v5, vcc
	v_and_b32_e32 v9, 7, v5
	v_cmp_lt_i32_e32 vcc, 5, v9
	v_cmp_eq_u32_e64 s[0:1], 3, v9
	v_lshrrev_b32_e32 v9, 16, v7
	v_lshrrev_b32_e32 v5, 2, v5
	s_or_b64 vcc, s[0:1], vcc
	v_mul_f16_sdwa v10, v48, v9 dst_sel:DWORD dst_unused:UNUSED_PAD src0_sel:WORD_1 src1_sel:DWORD
	v_addc_co_u32_e32 v5, vcc, 0, v5, vcc
	v_fma_f16 v10, v48, v7, v10
	v_cmp_gt_i32_e32 vcc, 31, v6
	v_cvt_f32_f16_e32 v10, v10
	v_cndmask_b32_e32 v5, v0, v5, vcc
	v_cmp_ne_u32_e32 vcc, 0, v3
	v_cndmask_b32_e64 v3, 0, 1, vcc
	v_lshl_or_b32 v3, v3, 9, v0
	v_cmp_eq_u32_e32 vcc, s6, v6
	v_cndmask_b32_e32 v3, v5, v3, vcc
	v_cvt_f64_f32_e32 v[5:6], v10
	v_lshrrev_b32_e32 v4, 16, v4
	v_and_or_b32 v10, v4, s7, v3
	v_add_co_u32_e32 v1, vcc, s8, v1
	v_mul_f64 v[3:4], v[5:6], s[2:3]
	v_mov_b32_e32 v6, s9
	v_and_b32_e32 v8, 0xffff, v8
	v_addc_co_u32_e32 v2, vcc, v2, v6, vcc
	v_lshl_or_b32 v5, v10, 16, v8
	global_store_dword v[1:2], v5, off
	v_mul_f16_sdwa v7, v48, v7 dst_sel:DWORD dst_unused:UNUSED_PAD src0_sel:WORD_1 src1_sel:DWORD
	v_and_or_b32 v3, v4, s4, v3
	v_cmp_ne_u32_e32 vcc, 0, v3
	v_cndmask_b32_e64 v3, 0, 1, vcc
	v_lshrrev_b32_e32 v5, 8, v4
	v_bfe_u32 v6, v4, 20, 11
	v_and_or_b32 v3, v5, s5, v3
	v_sub_u32_e32 v8, 0x3f1, v6
	v_or_b32_e32 v5, 0x1000, v3
	v_med3_i32 v8, v8, 0, 13
	v_lshrrev_b32_e32 v10, v8, v5
	v_lshlrev_b32_e32 v8, v8, v10
	v_cmp_ne_u32_e32 vcc, v8, v5
	v_fma_f16 v7, v48, v9, -v7
	v_cndmask_b32_e64 v5, 0, 1, vcc
	v_add_u32_e32 v8, 0xfffffc10, v6
	v_cvt_f32_f16_e32 v7, v7
	v_or_b32_e32 v5, v10, v5
	v_lshl_or_b32 v6, v8, 12, v3
	v_cmp_gt_i32_e32 vcc, 1, v8
	v_cndmask_b32_e32 v5, v6, v5, vcc
	v_and_b32_e32 v6, 7, v5
	v_cmp_lt_i32_e32 vcc, 5, v6
	v_cmp_eq_u32_e64 s[0:1], 3, v6
	v_lshrrev_b32_e32 v9, 2, v5
	v_cvt_f64_f32_e32 v[5:6], v7
	s_or_b64 vcc, s[0:1], vcc
	v_addc_co_u32_e32 v7, vcc, 0, v9, vcc
	v_mul_f64 v[5:6], v[5:6], s[2:3]
	v_cmp_gt_i32_e32 vcc, 31, v8
	v_cndmask_b32_e32 v7, v0, v7, vcc
	v_cmp_ne_u32_e32 vcc, 0, v3
	v_cndmask_b32_e64 v3, 0, 1, vcc
	v_lshl_or_b32 v3, v3, 9, v0
	v_cmp_eq_u32_e32 vcc, s6, v8
	v_cndmask_b32_e32 v3, v7, v3, vcc
	v_lshrrev_b32_e32 v4, 16, v4
	v_and_or_b32 v9, v4, s7, v3
	v_and_or_b32 v3, v6, s4, v5
	v_cmp_ne_u32_e32 vcc, 0, v3
	v_cndmask_b32_e64 v3, 0, 1, vcc
	v_lshrrev_b32_e32 v4, 8, v6
	v_and_or_b32 v5, v4, s5, v3
	v_bfe_u32 v4, v6, 20, 11
	v_sub_u32_e32 v7, 0x3f1, v4
	v_or_b32_e32 v3, 0x1000, v5
	v_med3_i32 v7, v7, 0, 13
	v_lshrrev_b32_e32 v8, v7, v3
	v_lshlrev_b32_e32 v7, v7, v8
	v_cmp_ne_u32_e32 vcc, v7, v3
	v_cndmask_b32_e64 v3, 0, 1, vcc
	v_add_u32_e32 v7, 0xfffffc10, v4
	v_or_b32_e32 v3, v8, v3
	v_lshl_or_b32 v4, v7, 12, v5
	v_cmp_gt_i32_e32 vcc, 1, v7
	v_cndmask_b32_e32 v3, v4, v3, vcc
	v_and_b32_e32 v4, 7, v3
	v_cmp_lt_i32_e32 vcc, 5, v4
	v_cmp_eq_u32_e64 s[0:1], 3, v4
	v_lshrrev_b32_e32 v3, 2, v3
	s_or_b64 vcc, s[0:1], vcc
	v_addc_co_u32_e32 v8, vcc, 0, v3, vcc
	v_add_u32_e32 v3, 0xa00, v42
	ds_read2_b32 v[3:4], v3 offset0:8 offset1:170
	v_cmp_gt_i32_e32 vcc, 31, v7
	v_cndmask_b32_e32 v8, v0, v8, vcc
	v_cmp_ne_u32_e32 vcc, 0, v5
	v_cndmask_b32_e64 v5, 0, 1, vcc
	s_waitcnt lgkmcnt(0)
	v_lshrrev_b32_e32 v10, 16, v3
	v_mul_f16_sdwa v11, v47, v10 dst_sel:DWORD dst_unused:UNUSED_PAD src0_sel:WORD_1 src1_sel:DWORD
	v_fma_f16 v11, v47, v3, v11
	v_cvt_f32_f16_e32 v11, v11
	v_lshl_or_b32 v5, v5, 9, v0
	v_cmp_eq_u32_e32 vcc, s6, v7
	v_cndmask_b32_e32 v5, v8, v5, vcc
	v_cvt_f64_f32_e32 v[7:8], v11
	v_lshrrev_b32_e32 v6, 16, v6
	v_and_or_b32 v11, v6, s7, v5
	v_add_co_u32_e32 v1, vcc, s8, v1
	v_mul_f64 v[5:6], v[7:8], s[2:3]
	v_mov_b32_e32 v8, s9
	v_and_b32_e32 v9, 0xffff, v9
	v_addc_co_u32_e32 v2, vcc, v2, v8, vcc
	v_lshl_or_b32 v7, v11, 16, v9
	global_store_dword v[1:2], v7, off
	v_mul_f16_sdwa v3, v47, v3 dst_sel:DWORD dst_unused:UNUSED_PAD src0_sel:WORD_1 src1_sel:DWORD
	v_and_or_b32 v5, v6, s4, v5
	v_cmp_ne_u32_e32 vcc, 0, v5
	v_cndmask_b32_e64 v5, 0, 1, vcc
	v_lshrrev_b32_e32 v7, 8, v6
	v_bfe_u32 v8, v6, 20, 11
	v_and_or_b32 v5, v7, s5, v5
	v_sub_u32_e32 v9, 0x3f1, v8
	v_or_b32_e32 v7, 0x1000, v5
	v_med3_i32 v9, v9, 0, 13
	v_lshrrev_b32_e32 v11, v9, v7
	v_lshlrev_b32_e32 v9, v9, v11
	v_cmp_ne_u32_e32 vcc, v9, v7
	v_fma_f16 v3, v47, v10, -v3
	v_cndmask_b32_e64 v7, 0, 1, vcc
	v_add_u32_e32 v9, 0xfffffc10, v8
	v_cvt_f32_f16_e32 v3, v3
	v_or_b32_e32 v7, v11, v7
	v_lshl_or_b32 v8, v9, 12, v5
	v_cmp_gt_i32_e32 vcc, 1, v9
	v_cndmask_b32_e32 v7, v8, v7, vcc
	v_and_b32_e32 v8, 7, v7
	v_cmp_lt_i32_e32 vcc, 5, v8
	v_cmp_eq_u32_e64 s[0:1], 3, v8
	v_lshrrev_b32_e32 v10, 2, v7
	v_cvt_f64_f32_e32 v[7:8], v3
	s_or_b64 vcc, s[0:1], vcc
	v_addc_co_u32_e32 v3, vcc, 0, v10, vcc
	v_mul_f64 v[7:8], v[7:8], s[2:3]
	v_cmp_gt_i32_e32 vcc, 31, v9
	v_cndmask_b32_e32 v3, v0, v3, vcc
	v_cmp_ne_u32_e32 vcc, 0, v5
	v_cndmask_b32_e64 v5, 0, 1, vcc
	v_lshl_or_b32 v5, v5, 9, v0
	v_cmp_eq_u32_e32 vcc, s6, v9
	v_cndmask_b32_e32 v3, v3, v5, vcc
	v_lshrrev_b32_e32 v5, 16, v6
	v_and_or_b32 v3, v5, s7, v3
	v_and_or_b32 v5, v8, s4, v7
	v_cmp_ne_u32_e32 vcc, 0, v5
	v_cndmask_b32_e64 v5, 0, 1, vcc
	v_lshrrev_b32_e32 v6, 8, v8
	v_bfe_u32 v7, v8, 20, 11
	v_and_or_b32 v5, v6, s5, v5
	v_sub_u32_e32 v9, 0x3f1, v7
	v_or_b32_e32 v6, 0x1000, v5
	v_med3_i32 v9, v9, 0, 13
	v_lshrrev_b32_e32 v10, v9, v6
	v_lshlrev_b32_e32 v9, v9, v10
	v_cmp_ne_u32_e32 vcc, v9, v6
	v_cndmask_b32_e64 v6, 0, 1, vcc
	v_add_u32_e32 v7, 0xfffffc10, v7
	v_or_b32_e32 v6, v10, v6
	v_lshl_or_b32 v9, v7, 12, v5
	v_cmp_gt_i32_e32 vcc, 1, v7
	v_cndmask_b32_e32 v6, v9, v6, vcc
	v_and_b32_e32 v9, 7, v6
	v_cmp_lt_i32_e32 vcc, 5, v9
	v_cmp_eq_u32_e64 s[0:1], 3, v9
	v_lshrrev_b32_e32 v9, 16, v4
	v_lshrrev_b32_e32 v6, 2, v6
	s_or_b64 vcc, s[0:1], vcc
	v_mul_f16_sdwa v10, v46, v9 dst_sel:DWORD dst_unused:UNUSED_PAD src0_sel:WORD_1 src1_sel:DWORD
	v_addc_co_u32_e32 v6, vcc, 0, v6, vcc
	v_fma_f16 v10, v46, v4, v10
	v_cmp_gt_i32_e32 vcc, 31, v7
	v_cvt_f32_f16_e32 v10, v10
	v_cndmask_b32_e32 v6, v0, v6, vcc
	v_cmp_ne_u32_e32 vcc, 0, v5
	v_cndmask_b32_e64 v5, 0, 1, vcc
	v_lshl_or_b32 v5, v5, 9, v0
	v_cmp_eq_u32_e32 vcc, s6, v7
	v_cndmask_b32_e32 v7, v6, v5, vcc
	v_cvt_f64_f32_e32 v[5:6], v10
	v_lshrrev_b32_e32 v8, 16, v8
	v_and_or_b32 v7, v8, s7, v7
	v_and_b32_e32 v3, 0xffff, v3
	v_mul_f64 v[5:6], v[5:6], s[2:3]
	v_lshl_or_b32 v3, v7, 16, v3
	v_mov_b32_e32 v7, s9
	v_add_co_u32_e32 v1, vcc, s8, v1
	v_addc_co_u32_e32 v2, vcc, v2, v7, vcc
	global_store_dword v[1:2], v3, off
	v_and_or_b32 v3, v6, s4, v5
	v_cmp_ne_u32_e32 vcc, 0, v3
	v_cndmask_b32_e64 v3, 0, 1, vcc
	v_lshrrev_b32_e32 v5, 8, v6
	v_bfe_u32 v7, v6, 20, 11
	v_and_or_b32 v5, v5, s5, v3
	v_sub_u32_e32 v8, 0x3f1, v7
	v_or_b32_e32 v3, 0x1000, v5
	v_med3_i32 v8, v8, 0, 13
	v_lshrrev_b32_e32 v10, v8, v3
	v_lshlrev_b32_e32 v8, v8, v10
	v_mul_f16_sdwa v4, v46, v4 dst_sel:DWORD dst_unused:UNUSED_PAD src0_sel:WORD_1 src1_sel:DWORD
	v_cmp_ne_u32_e32 vcc, v8, v3
	v_fma_f16 v4, v46, v9, -v4
	v_cndmask_b32_e64 v3, 0, 1, vcc
	v_add_u32_e32 v7, 0xfffffc10, v7
	v_cvt_f32_f16_e32 v4, v4
	v_or_b32_e32 v3, v10, v3
	v_lshl_or_b32 v8, v7, 12, v5
	v_cmp_gt_i32_e32 vcc, 1, v7
	v_cndmask_b32_e32 v3, v8, v3, vcc
	v_and_b32_e32 v8, 7, v3
	v_cmp_lt_i32_e32 vcc, 5, v8
	v_cmp_eq_u32_e64 s[0:1], 3, v8
	v_lshrrev_b32_e32 v8, 2, v3
	v_cvt_f64_f32_e32 v[3:4], v4
	s_or_b64 vcc, s[0:1], vcc
	v_addc_co_u32_e32 v8, vcc, 0, v8, vcc
	v_mul_f64 v[3:4], v[3:4], s[2:3]
	v_cmp_gt_i32_e32 vcc, 31, v7
	v_cndmask_b32_e32 v8, v0, v8, vcc
	v_cmp_ne_u32_e32 vcc, 0, v5
	v_cndmask_b32_e64 v5, 0, 1, vcc
	v_lshl_or_b32 v5, v5, 9, v0
	v_cmp_eq_u32_e32 vcc, s6, v7
	v_cndmask_b32_e32 v5, v8, v5, vcc
	v_and_or_b32 v3, v4, s4, v3
	v_lshrrev_b32_e32 v6, 16, v6
	v_cmp_ne_u32_e32 vcc, 0, v3
	v_and_or_b32 v9, v6, s7, v5
	v_cndmask_b32_e64 v3, 0, 1, vcc
	v_lshrrev_b32_e32 v5, 8, v4
	v_bfe_u32 v6, v4, 20, 11
	v_and_or_b32 v3, v5, s5, v3
	v_sub_u32_e32 v7, 0x3f1, v6
	v_or_b32_e32 v5, 0x1000, v3
	v_med3_i32 v7, v7, 0, 13
	v_lshrrev_b32_e32 v8, v7, v5
	v_lshlrev_b32_e32 v7, v7, v8
	v_cmp_ne_u32_e32 vcc, v7, v5
	v_cndmask_b32_e64 v5, 0, 1, vcc
	v_add_u32_e32 v7, 0xfffffc10, v6
	v_or_b32_e32 v5, v8, v5
	v_lshl_or_b32 v6, v7, 12, v3
	v_cmp_gt_i32_e32 vcc, 1, v7
	v_cndmask_b32_e32 v5, v6, v5, vcc
	v_and_b32_e32 v6, 7, v5
	v_cmp_lt_i32_e32 vcc, 5, v6
	v_cmp_eq_u32_e64 s[0:1], 3, v6
	v_lshrrev_b32_e32 v5, 2, v5
	s_or_b64 vcc, s[0:1], vcc
	v_addc_co_u32_e32 v8, vcc, 0, v5, vcc
	v_add_u32_e32 v5, 0xe00, v42
	ds_read2_b32 v[5:6], v5 offset0:76 offset1:238
	v_cmp_gt_i32_e32 vcc, 31, v7
	v_cndmask_b32_e32 v8, v0, v8, vcc
	v_cmp_ne_u32_e32 vcc, 0, v3
	v_cndmask_b32_e64 v3, 0, 1, vcc
	s_waitcnt lgkmcnt(0)
	v_lshrrev_b32_e32 v10, 16, v5
	v_mul_f16_sdwa v11, v45, v10 dst_sel:DWORD dst_unused:UNUSED_PAD src0_sel:WORD_1 src1_sel:DWORD
	v_fma_f16 v11, v45, v5, v11
	v_cvt_f32_f16_e32 v11, v11
	v_lshl_or_b32 v3, v3, 9, v0
	v_cmp_eq_u32_e32 vcc, s6, v7
	v_cndmask_b32_e32 v3, v8, v3, vcc
	v_cvt_f64_f32_e32 v[7:8], v11
	v_lshrrev_b32_e32 v4, 16, v4
	v_and_or_b32 v11, v4, s7, v3
	v_add_co_u32_e32 v1, vcc, s8, v1
	v_mul_f64 v[3:4], v[7:8], s[2:3]
	v_mov_b32_e32 v8, s9
	v_and_b32_e32 v9, 0xffff, v9
	v_addc_co_u32_e32 v2, vcc, v2, v8, vcc
	v_lshl_or_b32 v7, v11, 16, v9
	global_store_dword v[1:2], v7, off
	v_mul_f16_sdwa v5, v45, v5 dst_sel:DWORD dst_unused:UNUSED_PAD src0_sel:WORD_1 src1_sel:DWORD
	v_and_or_b32 v3, v4, s4, v3
	v_cmp_ne_u32_e32 vcc, 0, v3
	v_cndmask_b32_e64 v3, 0, 1, vcc
	v_lshrrev_b32_e32 v7, 8, v4
	v_bfe_u32 v8, v4, 20, 11
	v_and_or_b32 v3, v7, s5, v3
	v_sub_u32_e32 v9, 0x3f1, v8
	v_or_b32_e32 v7, 0x1000, v3
	v_med3_i32 v9, v9, 0, 13
	v_lshrrev_b32_e32 v11, v9, v7
	v_lshlrev_b32_e32 v9, v9, v11
	v_cmp_ne_u32_e32 vcc, v9, v7
	v_fma_f16 v5, v45, v10, -v5
	v_cndmask_b32_e64 v7, 0, 1, vcc
	v_add_u32_e32 v9, 0xfffffc10, v8
	v_cvt_f32_f16_e32 v5, v5
	v_or_b32_e32 v7, v11, v7
	v_lshl_or_b32 v8, v9, 12, v3
	v_cmp_gt_i32_e32 vcc, 1, v9
	v_cndmask_b32_e32 v7, v8, v7, vcc
	v_and_b32_e32 v8, 7, v7
	v_cmp_lt_i32_e32 vcc, 5, v8
	v_cmp_eq_u32_e64 s[0:1], 3, v8
	v_lshrrev_b32_e32 v10, 2, v7
	v_cvt_f64_f32_e32 v[7:8], v5
	s_or_b64 vcc, s[0:1], vcc
	v_addc_co_u32_e32 v5, vcc, 0, v10, vcc
	v_mul_f64 v[7:8], v[7:8], s[2:3]
	v_cmp_gt_i32_e32 vcc, 31, v9
	v_cndmask_b32_e32 v5, v0, v5, vcc
	v_cmp_ne_u32_e32 vcc, 0, v3
	v_cndmask_b32_e64 v3, 0, 1, vcc
	v_lshl_or_b32 v3, v3, 9, v0
	v_cmp_eq_u32_e32 vcc, s6, v9
	v_cndmask_b32_e32 v3, v5, v3, vcc
	v_lshrrev_b32_e32 v4, 16, v4
	v_and_or_b32 v5, v4, s7, v3
	v_and_or_b32 v3, v8, s4, v7
	v_cmp_ne_u32_e32 vcc, 0, v3
	v_cndmask_b32_e64 v3, 0, 1, vcc
	v_lshrrev_b32_e32 v4, 8, v8
	v_bfe_u32 v7, v8, 20, 11
	v_and_or_b32 v3, v4, s5, v3
	v_sub_u32_e32 v9, 0x3f1, v7
	v_or_b32_e32 v4, 0x1000, v3
	v_med3_i32 v9, v9, 0, 13
	v_lshrrev_b32_e32 v10, v9, v4
	v_lshlrev_b32_e32 v9, v9, v10
	v_cmp_ne_u32_e32 vcc, v9, v4
	v_cndmask_b32_e64 v4, 0, 1, vcc
	v_add_u32_e32 v7, 0xfffffc10, v7
	v_or_b32_e32 v4, v10, v4
	v_lshl_or_b32 v9, v7, 12, v3
	v_cmp_gt_i32_e32 vcc, 1, v7
	v_cndmask_b32_e32 v4, v9, v4, vcc
	v_and_b32_e32 v9, 7, v4
	v_cmp_lt_i32_e32 vcc, 5, v9
	v_cmp_eq_u32_e64 s[0:1], 3, v9
	v_lshrrev_b32_e32 v9, 16, v6
	v_lshrrev_b32_e32 v4, 2, v4
	s_or_b64 vcc, s[0:1], vcc
	v_mul_f16_sdwa v10, v44, v9 dst_sel:DWORD dst_unused:UNUSED_PAD src0_sel:WORD_1 src1_sel:DWORD
	v_addc_co_u32_e32 v4, vcc, 0, v4, vcc
	v_fma_f16 v10, v44, v6, v10
	v_cmp_gt_i32_e32 vcc, 31, v7
	v_cvt_f32_f16_e32 v10, v10
	v_cndmask_b32_e32 v4, v0, v4, vcc
	v_cmp_ne_u32_e32 vcc, 0, v3
	v_cndmask_b32_e64 v3, 0, 1, vcc
	v_lshl_or_b32 v3, v3, 9, v0
	v_cmp_eq_u32_e32 vcc, s6, v7
	v_cndmask_b32_e32 v7, v4, v3, vcc
	v_cvt_f64_f32_e32 v[3:4], v10
	v_lshrrev_b32_e32 v8, 16, v8
	v_and_or_b32 v7, v8, s7, v7
	v_and_b32_e32 v5, 0xffff, v5
	v_mul_f64 v[3:4], v[3:4], s[2:3]
	v_lshl_or_b32 v5, v7, 16, v5
	v_mov_b32_e32 v7, s9
	v_add_co_u32_e32 v1, vcc, s8, v1
	v_addc_co_u32_e32 v2, vcc, v2, v7, vcc
	global_store_dword v[1:2], v5, off
	v_and_or_b32 v3, v4, s4, v3
	v_cmp_ne_u32_e32 vcc, 0, v3
	v_cndmask_b32_e64 v3, 0, 1, vcc
	v_lshrrev_b32_e32 v5, 8, v4
	v_bfe_u32 v7, v4, 20, 11
	v_and_or_b32 v3, v5, s5, v3
	v_sub_u32_e32 v8, 0x3f1, v7
	v_or_b32_e32 v5, 0x1000, v3
	v_med3_i32 v8, v8, 0, 13
	v_lshrrev_b32_e32 v10, v8, v5
	v_lshlrev_b32_e32 v8, v8, v10
	v_mul_f16_sdwa v6, v44, v6 dst_sel:DWORD dst_unused:UNUSED_PAD src0_sel:WORD_1 src1_sel:DWORD
	v_cmp_ne_u32_e32 vcc, v8, v5
	v_fma_f16 v6, v44, v9, -v6
	v_cndmask_b32_e64 v5, 0, 1, vcc
	v_add_u32_e32 v7, 0xfffffc10, v7
	v_cvt_f32_f16_e32 v6, v6
	v_or_b32_e32 v5, v10, v5
	v_lshl_or_b32 v8, v7, 12, v3
	v_cmp_gt_i32_e32 vcc, 1, v7
	v_cndmask_b32_e32 v5, v8, v5, vcc
	v_and_b32_e32 v8, 7, v5
	v_cmp_lt_i32_e32 vcc, 5, v8
	v_cmp_eq_u32_e64 s[0:1], 3, v8
	v_lshrrev_b32_e32 v8, 2, v5
	v_cvt_f64_f32_e32 v[5:6], v6
	s_or_b64 vcc, s[0:1], vcc
	v_addc_co_u32_e32 v8, vcc, 0, v8, vcc
	v_mul_f64 v[5:6], v[5:6], s[2:3]
	v_cmp_gt_i32_e32 vcc, 31, v7
	v_cndmask_b32_e32 v8, v0, v8, vcc
	v_cmp_ne_u32_e32 vcc, 0, v3
	v_cndmask_b32_e64 v3, 0, 1, vcc
	v_lshl_or_b32 v3, v3, 9, v0
	v_cmp_eq_u32_e32 vcc, s6, v7
	v_cndmask_b32_e32 v3, v8, v3, vcc
	v_lshrrev_b32_e32 v4, 16, v4
	v_and_or_b32 v9, v4, s7, v3
	v_and_or_b32 v3, v6, s4, v5
	v_cmp_ne_u32_e32 vcc, 0, v3
	v_cndmask_b32_e64 v3, 0, 1, vcc
	v_lshrrev_b32_e32 v4, 8, v6
	v_and_or_b32 v5, v4, s5, v3
	v_bfe_u32 v4, v6, 20, 11
	v_sub_u32_e32 v7, 0x3f1, v4
	v_or_b32_e32 v3, 0x1000, v5
	v_med3_i32 v7, v7, 0, 13
	v_lshrrev_b32_e32 v8, v7, v3
	v_lshlrev_b32_e32 v7, v7, v8
	v_cmp_ne_u32_e32 vcc, v7, v3
	v_cndmask_b32_e64 v3, 0, 1, vcc
	v_add_u32_e32 v7, 0xfffffc10, v4
	v_or_b32_e32 v3, v8, v3
	v_lshl_or_b32 v4, v7, 12, v5
	v_cmp_gt_i32_e32 vcc, 1, v7
	v_cndmask_b32_e32 v3, v4, v3, vcc
	v_and_b32_e32 v4, 7, v3
	v_cmp_lt_i32_e32 vcc, 5, v4
	v_cmp_eq_u32_e64 s[0:1], 3, v4
	v_lshrrev_b32_e32 v3, 2, v3
	s_or_b64 vcc, s[0:1], vcc
	v_addc_co_u32_e32 v8, vcc, 0, v3, vcc
	v_add_u32_e32 v3, 0x1400, v42
	ds_read2_b32 v[3:4], v3 offset0:16 offset1:178
	v_cmp_gt_i32_e32 vcc, 31, v7
	v_cndmask_b32_e32 v8, v0, v8, vcc
	v_cmp_ne_u32_e32 vcc, 0, v5
	v_cndmask_b32_e64 v5, 0, 1, vcc
	s_waitcnt lgkmcnt(0)
	v_lshrrev_b32_e32 v10, 16, v3
	v_mul_f16_sdwa v11, v43, v10 dst_sel:DWORD dst_unused:UNUSED_PAD src0_sel:WORD_1 src1_sel:DWORD
	v_fma_f16 v11, v43, v3, v11
	v_cvt_f32_f16_e32 v11, v11
	v_lshl_or_b32 v5, v5, 9, v0
	v_cmp_eq_u32_e32 vcc, s6, v7
	v_cndmask_b32_e32 v5, v8, v5, vcc
	v_cvt_f64_f32_e32 v[7:8], v11
	v_lshrrev_b32_e32 v6, 16, v6
	v_and_or_b32 v11, v6, s7, v5
	v_add_co_u32_e32 v1, vcc, s8, v1
	v_mul_f64 v[5:6], v[7:8], s[2:3]
	v_mov_b32_e32 v8, s9
	v_and_b32_e32 v9, 0xffff, v9
	v_addc_co_u32_e32 v2, vcc, v2, v8, vcc
	v_lshl_or_b32 v7, v11, 16, v9
	global_store_dword v[1:2], v7, off
	v_mul_f16_sdwa v3, v43, v3 dst_sel:DWORD dst_unused:UNUSED_PAD src0_sel:WORD_1 src1_sel:DWORD
	v_and_or_b32 v5, v6, s4, v5
	v_cmp_ne_u32_e32 vcc, 0, v5
	v_cndmask_b32_e64 v5, 0, 1, vcc
	v_lshrrev_b32_e32 v7, 8, v6
	v_bfe_u32 v8, v6, 20, 11
	v_and_or_b32 v5, v7, s5, v5
	v_sub_u32_e32 v9, 0x3f1, v8
	v_or_b32_e32 v7, 0x1000, v5
	v_med3_i32 v9, v9, 0, 13
	v_lshrrev_b32_e32 v11, v9, v7
	v_lshlrev_b32_e32 v9, v9, v11
	v_cmp_ne_u32_e32 vcc, v9, v7
	v_fma_f16 v3, v43, v10, -v3
	v_cndmask_b32_e64 v7, 0, 1, vcc
	v_add_u32_e32 v9, 0xfffffc10, v8
	v_cvt_f32_f16_e32 v3, v3
	v_or_b32_e32 v7, v11, v7
	v_lshl_or_b32 v8, v9, 12, v5
	v_cmp_gt_i32_e32 vcc, 1, v9
	v_cndmask_b32_e32 v7, v8, v7, vcc
	v_and_b32_e32 v8, 7, v7
	v_cmp_lt_i32_e32 vcc, 5, v8
	v_cmp_eq_u32_e64 s[0:1], 3, v8
	v_lshrrev_b32_e32 v10, 2, v7
	v_cvt_f64_f32_e32 v[7:8], v3
	s_or_b64 vcc, s[0:1], vcc
	v_addc_co_u32_e32 v3, vcc, 0, v10, vcc
	v_mul_f64 v[7:8], v[7:8], s[2:3]
	v_cmp_gt_i32_e32 vcc, 31, v9
	v_cndmask_b32_e32 v3, v0, v3, vcc
	v_cmp_ne_u32_e32 vcc, 0, v5
	v_cndmask_b32_e64 v5, 0, 1, vcc
	v_lshl_or_b32 v5, v5, 9, v0
	v_cmp_eq_u32_e32 vcc, s6, v9
	v_cndmask_b32_e32 v3, v3, v5, vcc
	v_lshrrev_b32_e32 v5, 16, v6
	v_and_or_b32 v3, v5, s7, v3
	v_and_or_b32 v5, v8, s4, v7
	v_cmp_ne_u32_e32 vcc, 0, v5
	v_cndmask_b32_e64 v5, 0, 1, vcc
	v_lshrrev_b32_e32 v6, 8, v8
	v_bfe_u32 v7, v8, 20, 11
	v_and_or_b32 v5, v6, s5, v5
	v_sub_u32_e32 v9, 0x3f1, v7
	v_or_b32_e32 v6, 0x1000, v5
	v_med3_i32 v9, v9, 0, 13
	v_lshrrev_b32_e32 v10, v9, v6
	v_lshlrev_b32_e32 v9, v9, v10
	v_cmp_ne_u32_e32 vcc, v9, v6
	v_cndmask_b32_e64 v6, 0, 1, vcc
	v_add_u32_e32 v7, 0xfffffc10, v7
	v_or_b32_e32 v6, v10, v6
	v_lshl_or_b32 v9, v7, 12, v5
	v_cmp_gt_i32_e32 vcc, 1, v7
	v_cndmask_b32_e32 v6, v9, v6, vcc
	v_and_b32_e32 v9, 7, v6
	v_cmp_lt_i32_e32 vcc, 5, v9
	v_cmp_eq_u32_e64 s[0:1], 3, v9
	v_lshrrev_b32_e32 v9, 16, v4
	v_lshrrev_b32_e32 v6, 2, v6
	s_or_b64 vcc, s[0:1], vcc
	v_mul_f16_sdwa v10, v41, v9 dst_sel:DWORD dst_unused:UNUSED_PAD src0_sel:WORD_1 src1_sel:DWORD
	v_addc_co_u32_e32 v6, vcc, 0, v6, vcc
	v_fma_f16 v10, v41, v4, v10
	v_cmp_gt_i32_e32 vcc, 31, v7
	v_cvt_f32_f16_e32 v10, v10
	v_cndmask_b32_e32 v6, v0, v6, vcc
	v_cmp_ne_u32_e32 vcc, 0, v5
	v_cndmask_b32_e64 v5, 0, 1, vcc
	v_lshl_or_b32 v5, v5, 9, v0
	v_cmp_eq_u32_e32 vcc, s6, v7
	v_cndmask_b32_e32 v7, v6, v5, vcc
	v_cvt_f64_f32_e32 v[5:6], v10
	v_lshrrev_b32_e32 v8, 16, v8
	v_and_or_b32 v7, v8, s7, v7
	v_and_b32_e32 v3, 0xffff, v3
	v_mul_f64 v[5:6], v[5:6], s[2:3]
	v_lshl_or_b32 v3, v7, 16, v3
	v_mov_b32_e32 v7, s9
	v_add_co_u32_e32 v1, vcc, s8, v1
	v_addc_co_u32_e32 v2, vcc, v2, v7, vcc
	global_store_dword v[1:2], v3, off
	v_and_or_b32 v3, v6, s4, v5
	v_cmp_ne_u32_e32 vcc, 0, v3
	v_cndmask_b32_e64 v3, 0, 1, vcc
	v_lshrrev_b32_e32 v5, 8, v6
	v_bfe_u32 v7, v6, 20, 11
	v_and_or_b32 v5, v5, s5, v3
	v_sub_u32_e32 v8, 0x3f1, v7
	v_or_b32_e32 v3, 0x1000, v5
	v_med3_i32 v8, v8, 0, 13
	v_lshrrev_b32_e32 v10, v8, v3
	v_lshlrev_b32_e32 v8, v8, v10
	v_mul_f16_sdwa v4, v41, v4 dst_sel:DWORD dst_unused:UNUSED_PAD src0_sel:WORD_1 src1_sel:DWORD
	v_cmp_ne_u32_e32 vcc, v8, v3
	v_fma_f16 v4, v41, v9, -v4
	v_cndmask_b32_e64 v3, 0, 1, vcc
	v_add_u32_e32 v7, 0xfffffc10, v7
	v_cvt_f32_f16_e32 v4, v4
	v_or_b32_e32 v3, v10, v3
	v_lshl_or_b32 v8, v7, 12, v5
	v_cmp_gt_i32_e32 vcc, 1, v7
	v_cndmask_b32_e32 v3, v8, v3, vcc
	v_and_b32_e32 v8, 7, v3
	v_cmp_lt_i32_e32 vcc, 5, v8
	v_cmp_eq_u32_e64 s[0:1], 3, v8
	v_lshrrev_b32_e32 v8, 2, v3
	v_cvt_f64_f32_e32 v[3:4], v4
	s_or_b64 vcc, s[0:1], vcc
	v_addc_co_u32_e32 v8, vcc, 0, v8, vcc
	v_mul_f64 v[3:4], v[3:4], s[2:3]
	v_cmp_gt_i32_e32 vcc, 31, v7
	v_cndmask_b32_e32 v8, v0, v8, vcc
	v_cmp_ne_u32_e32 vcc, 0, v5
	v_cndmask_b32_e64 v5, 0, 1, vcc
	v_lshl_or_b32 v5, v5, 9, v0
	v_cmp_eq_u32_e32 vcc, s6, v7
	v_cndmask_b32_e32 v5, v8, v5, vcc
	v_and_or_b32 v3, v4, s4, v3
	v_lshrrev_b32_e32 v6, 16, v6
	v_cmp_ne_u32_e32 vcc, 0, v3
	v_and_or_b32 v5, v6, s7, v5
	v_cndmask_b32_e64 v3, 0, 1, vcc
	v_lshrrev_b32_e32 v6, 8, v4
	v_bfe_u32 v7, v4, 20, 11
	v_and_or_b32 v3, v6, s5, v3
	v_sub_u32_e32 v8, 0x3f1, v7
	v_or_b32_e32 v6, 0x1000, v3
	v_med3_i32 v8, v8, 0, 13
	v_lshrrev_b32_e32 v9, v8, v6
	v_lshlrev_b32_e32 v8, v8, v9
	v_cmp_ne_u32_e32 vcc, v8, v6
	v_cndmask_b32_e64 v6, 0, 1, vcc
	v_add_u32_e32 v7, 0xfffffc10, v7
	v_or_b32_e32 v6, v9, v6
	v_lshl_or_b32 v8, v7, 12, v3
	v_cmp_gt_i32_e32 vcc, 1, v7
	v_cndmask_b32_e32 v6, v8, v6, vcc
	v_and_b32_e32 v8, 7, v6
	v_cmp_lt_i32_e32 vcc, 5, v8
	v_cmp_eq_u32_e64 s[0:1], 3, v8
	v_lshrrev_b32_e32 v6, 2, v6
	s_or_b64 vcc, s[0:1], vcc
	v_addc_co_u32_e32 v6, vcc, 0, v6, vcc
	v_cmp_gt_i32_e32 vcc, 31, v7
	v_cndmask_b32_e32 v6, v0, v6, vcc
	v_cmp_ne_u32_e32 vcc, 0, v3
	v_cndmask_b32_e64 v3, 0, 1, vcc
	v_lshl_or_b32 v0, v3, 9, v0
	v_cmp_eq_u32_e32 vcc, s6, v7
	v_cndmask_b32_e32 v0, v6, v0, vcc
	v_lshrrev_b32_e32 v3, 16, v4
	v_and_or_b32 v0, v3, s7, v0
	v_and_b32_e32 v3, 0xffff, v5
	v_lshl_or_b32 v3, v0, 16, v3
	v_mov_b32_e32 v4, s9
	v_add_co_u32_e32 v0, vcc, s8, v1
	v_addc_co_u32_e32 v1, vcc, v2, v4, vcc
	global_store_dword v[0:1], v3, off
.LBB0_34:
	s_endpgm
	.section	.rodata,"a",@progbits
	.p2align	6, 0x0
	.amdhsa_kernel bluestein_single_fwd_len1620_dim1_half_op_CI_CI
		.amdhsa_group_segment_fixed_size 6480
		.amdhsa_private_segment_fixed_size 0
		.amdhsa_kernarg_size 104
		.amdhsa_user_sgpr_count 6
		.amdhsa_user_sgpr_private_segment_buffer 1
		.amdhsa_user_sgpr_dispatch_ptr 0
		.amdhsa_user_sgpr_queue_ptr 0
		.amdhsa_user_sgpr_kernarg_segment_ptr 1
		.amdhsa_user_sgpr_dispatch_id 0
		.amdhsa_user_sgpr_flat_scratch_init 0
		.amdhsa_user_sgpr_private_segment_size 0
		.amdhsa_uses_dynamic_stack 0
		.amdhsa_system_sgpr_private_segment_wavefront_offset 0
		.amdhsa_system_sgpr_workgroup_id_x 1
		.amdhsa_system_sgpr_workgroup_id_y 0
		.amdhsa_system_sgpr_workgroup_id_z 0
		.amdhsa_system_sgpr_workgroup_info 0
		.amdhsa_system_vgpr_workitem_id 0
		.amdhsa_next_free_vgpr 99
		.amdhsa_next_free_sgpr 20
		.amdhsa_reserve_vcc 1
		.amdhsa_reserve_flat_scratch 0
		.amdhsa_float_round_mode_32 0
		.amdhsa_float_round_mode_16_64 0
		.amdhsa_float_denorm_mode_32 3
		.amdhsa_float_denorm_mode_16_64 3
		.amdhsa_dx10_clamp 1
		.amdhsa_ieee_mode 1
		.amdhsa_fp16_overflow 0
		.amdhsa_exception_fp_ieee_invalid_op 0
		.amdhsa_exception_fp_denorm_src 0
		.amdhsa_exception_fp_ieee_div_zero 0
		.amdhsa_exception_fp_ieee_overflow 0
		.amdhsa_exception_fp_ieee_underflow 0
		.amdhsa_exception_fp_ieee_inexact 0
		.amdhsa_exception_int_div_zero 0
	.end_amdhsa_kernel
	.text
.Lfunc_end0:
	.size	bluestein_single_fwd_len1620_dim1_half_op_CI_CI, .Lfunc_end0-bluestein_single_fwd_len1620_dim1_half_op_CI_CI
                                        ; -- End function
	.section	.AMDGPU.csdata,"",@progbits
; Kernel info:
; codeLenInByte = 18272
; NumSgprs: 24
; NumVgprs: 99
; ScratchSize: 0
; MemoryBound: 0
; FloatMode: 240
; IeeeMode: 1
; LDSByteSize: 6480 bytes/workgroup (compile time only)
; SGPRBlocks: 2
; VGPRBlocks: 24
; NumSGPRsForWavesPerEU: 24
; NumVGPRsForWavesPerEU: 99
; Occupancy: 2
; WaveLimiterHint : 1
; COMPUTE_PGM_RSRC2:SCRATCH_EN: 0
; COMPUTE_PGM_RSRC2:USER_SGPR: 6
; COMPUTE_PGM_RSRC2:TRAP_HANDLER: 0
; COMPUTE_PGM_RSRC2:TGID_X_EN: 1
; COMPUTE_PGM_RSRC2:TGID_Y_EN: 0
; COMPUTE_PGM_RSRC2:TGID_Z_EN: 0
; COMPUTE_PGM_RSRC2:TIDIG_COMP_CNT: 0
	.type	__hip_cuid_ab1c390a50d0d3e9,@object ; @__hip_cuid_ab1c390a50d0d3e9
	.section	.bss,"aw",@nobits
	.globl	__hip_cuid_ab1c390a50d0d3e9
__hip_cuid_ab1c390a50d0d3e9:
	.byte	0                               ; 0x0
	.size	__hip_cuid_ab1c390a50d0d3e9, 1

	.ident	"AMD clang version 19.0.0git (https://github.com/RadeonOpenCompute/llvm-project roc-6.4.0 25133 c7fe45cf4b819c5991fe208aaa96edf142730f1d)"
	.section	".note.GNU-stack","",@progbits
	.addrsig
	.addrsig_sym __hip_cuid_ab1c390a50d0d3e9
	.amdgpu_metadata
---
amdhsa.kernels:
  - .args:
      - .actual_access:  read_only
        .address_space:  global
        .offset:         0
        .size:           8
        .value_kind:     global_buffer
      - .actual_access:  read_only
        .address_space:  global
        .offset:         8
        .size:           8
        .value_kind:     global_buffer
      - .actual_access:  read_only
        .address_space:  global
        .offset:         16
        .size:           8
        .value_kind:     global_buffer
      - .actual_access:  read_only
        .address_space:  global
        .offset:         24
        .size:           8
        .value_kind:     global_buffer
      - .actual_access:  read_only
        .address_space:  global
        .offset:         32
        .size:           8
        .value_kind:     global_buffer
      - .offset:         40
        .size:           8
        .value_kind:     by_value
      - .address_space:  global
        .offset:         48
        .size:           8
        .value_kind:     global_buffer
      - .address_space:  global
        .offset:         56
        .size:           8
        .value_kind:     global_buffer
      - .address_space:  global
        .offset:         64
        .size:           8
        .value_kind:     global_buffer
      - .address_space:  global
        .offset:         72
        .size:           8
        .value_kind:     global_buffer
      - .offset:         80
        .size:           4
        .value_kind:     by_value
      - .address_space:  global
        .offset:         88
        .size:           8
        .value_kind:     global_buffer
      - .address_space:  global
        .offset:         96
        .size:           8
        .value_kind:     global_buffer
    .group_segment_fixed_size: 6480
    .kernarg_segment_align: 8
    .kernarg_segment_size: 104
    .language:       OpenCL C
    .language_version:
      - 2
      - 0
    .max_flat_workgroup_size: 162
    .name:           bluestein_single_fwd_len1620_dim1_half_op_CI_CI
    .private_segment_fixed_size: 0
    .sgpr_count:     24
    .sgpr_spill_count: 0
    .symbol:         bluestein_single_fwd_len1620_dim1_half_op_CI_CI.kd
    .uniform_work_group_size: 1
    .uses_dynamic_stack: false
    .vgpr_count:     99
    .vgpr_spill_count: 0
    .wavefront_size: 64
amdhsa.target:   amdgcn-amd-amdhsa--gfx906
amdhsa.version:
  - 1
  - 2
...

	.end_amdgpu_metadata
